;; amdgpu-corpus repo=ROCm/rocFFT kind=compiled arch=gfx950 opt=O3
	.text
	.amdgcn_target "amdgcn-amd-amdhsa--gfx950"
	.amdhsa_code_object_version 6
	.protected	fft_rtc_fwd_len1768_factors_17_13_8_wgs_136_tpt_136_halfLds_sp_op_CI_CI_sbrr_dirReg ; -- Begin function fft_rtc_fwd_len1768_factors_17_13_8_wgs_136_tpt_136_halfLds_sp_op_CI_CI_sbrr_dirReg
	.globl	fft_rtc_fwd_len1768_factors_17_13_8_wgs_136_tpt_136_halfLds_sp_op_CI_CI_sbrr_dirReg
	.p2align	8
	.type	fft_rtc_fwd_len1768_factors_17_13_8_wgs_136_tpt_136_halfLds_sp_op_CI_CI_sbrr_dirReg,@function
fft_rtc_fwd_len1768_factors_17_13_8_wgs_136_tpt_136_halfLds_sp_op_CI_CI_sbrr_dirReg: ; @fft_rtc_fwd_len1768_factors_17_13_8_wgs_136_tpt_136_halfLds_sp_op_CI_CI_sbrr_dirReg
; %bb.0:
	s_load_dwordx4 s[12:15], s[0:1], 0x18
	s_load_dwordx4 s[4:7], s[0:1], 0x0
	;; [unrolled: 1-line block ×3, first 2 shown]
	v_mul_u32_u24_e32 v1, 0x1e2, v0
	v_add_u32_sdwa v10, s2, v1 dst_sel:DWORD dst_unused:UNUSED_PAD src0_sel:DWORD src1_sel:WORD_1
	s_waitcnt lgkmcnt(0)
	s_load_dwordx2 s[18:19], s[12:13], 0x0
	s_load_dwordx2 s[16:17], s[14:15], 0x0
	v_mov_b32_e32 v2, 0
	v_cmp_lt_u64_e64 s[2:3], s[6:7], 2
	v_mov_b32_e32 v11, v2
	s_and_b64 vcc, exec, s[2:3]
	v_mov_b64_e32 v[8:9], 0
	s_cbranch_vccnz .LBB0_8
; %bb.1:
	s_load_dwordx2 s[2:3], s[0:1], 0x10
	s_add_u32 s20, s14, 8
	s_addc_u32 s21, s15, 0
	s_add_u32 s22, s12, 8
	s_addc_u32 s23, s13, 0
	s_waitcnt lgkmcnt(0)
	s_add_u32 s24, s2, 8
	v_mov_b64_e32 v[8:9], 0
	s_addc_u32 s25, s3, 0
	s_mov_b64 s[26:27], 1
	v_mov_b64_e32 v[4:5], v[8:9]
.LBB0_2:                                ; =>This Inner Loop Header: Depth=1
	s_load_dwordx2 s[28:29], s[24:25], 0x0
                                        ; implicit-def: $vgpr6_vgpr7
	s_waitcnt lgkmcnt(0)
	v_or_b32_e32 v3, s29, v11
	v_cmp_ne_u64_e32 vcc, 0, v[2:3]
	s_and_saveexec_b64 s[2:3], vcc
	s_xor_b64 s[30:31], exec, s[2:3]
	s_cbranch_execz .LBB0_4
; %bb.3:                                ;   in Loop: Header=BB0_2 Depth=1
	v_cvt_f32_u32_e32 v1, s28
	v_cvt_f32_u32_e32 v3, s29
	s_sub_u32 s2, 0, s28
	s_subb_u32 s3, 0, s29
	v_fmac_f32_e32 v1, 0x4f800000, v3
	v_rcp_f32_e32 v1, v1
	s_nop 0
	v_mul_f32_e32 v1, 0x5f7ffffc, v1
	v_mul_f32_e32 v3, 0x2f800000, v1
	v_trunc_f32_e32 v3, v3
	v_fmac_f32_e32 v1, 0xcf800000, v3
	v_cvt_u32_f32_e32 v3, v3
	v_cvt_u32_f32_e32 v1, v1
	v_mul_lo_u32 v6, s2, v3
	v_mul_hi_u32 v12, s2, v1
	v_mul_lo_u32 v7, s3, v1
	v_add_u32_e32 v12, v12, v6
	v_mul_lo_u32 v14, s2, v1
	v_add_u32_e32 v15, v12, v7
	v_mul_hi_u32 v6, v1, v14
	v_mul_hi_u32 v13, v1, v15
	v_mul_lo_u32 v12, v1, v15
	v_mov_b32_e32 v7, v2
	v_lshl_add_u64 v[6:7], v[6:7], 0, v[12:13]
	v_mul_hi_u32 v13, v3, v14
	v_mul_lo_u32 v14, v3, v14
	v_add_co_u32_e32 v6, vcc, v6, v14
	v_mul_hi_u32 v12, v3, v15
	s_nop 0
	v_addc_co_u32_e32 v6, vcc, v7, v13, vcc
	v_mov_b32_e32 v7, v2
	s_nop 0
	v_addc_co_u32_e32 v13, vcc, 0, v12, vcc
	v_mul_lo_u32 v12, v3, v15
	v_lshl_add_u64 v[6:7], v[6:7], 0, v[12:13]
	v_add_co_u32_e32 v1, vcc, v1, v6
	v_mul_lo_u32 v12, s2, v1
	s_nop 0
	v_addc_co_u32_e32 v3, vcc, v3, v7, vcc
	v_mul_lo_u32 v6, s2, v3
	v_mul_hi_u32 v7, s2, v1
	v_add_u32_e32 v6, v7, v6
	v_mul_lo_u32 v7, s3, v1
	v_add_u32_e32 v14, v6, v7
	v_mul_hi_u32 v16, v3, v12
	v_mul_lo_u32 v17, v3, v12
	v_mul_hi_u32 v7, v1, v14
	v_mul_lo_u32 v6, v1, v14
	v_mul_hi_u32 v12, v1, v12
	v_mov_b32_e32 v13, v2
	v_lshl_add_u64 v[6:7], v[12:13], 0, v[6:7]
	v_add_co_u32_e32 v6, vcc, v6, v17
	v_mul_hi_u32 v15, v3, v14
	s_nop 0
	v_addc_co_u32_e32 v6, vcc, v7, v16, vcc
	v_mul_lo_u32 v12, v3, v14
	s_nop 0
	v_addc_co_u32_e32 v13, vcc, 0, v15, vcc
	v_mov_b32_e32 v7, v2
	v_lshl_add_u64 v[6:7], v[6:7], 0, v[12:13]
	v_add_co_u32_e32 v1, vcc, v1, v6
	v_mul_hi_u32 v12, v10, v1
	s_nop 0
	v_addc_co_u32_e32 v3, vcc, v3, v7, vcc
	v_mad_u64_u32 v[6:7], s[2:3], v10, v3, 0
	v_mov_b32_e32 v13, v2
	v_lshl_add_u64 v[6:7], v[12:13], 0, v[6:7]
	v_mad_u64_u32 v[14:15], s[2:3], v11, v1, 0
	v_add_co_u32_e32 v1, vcc, v6, v14
	v_mad_u64_u32 v[12:13], s[2:3], v11, v3, 0
	s_nop 0
	v_addc_co_u32_e32 v6, vcc, v7, v15, vcc
	v_mov_b32_e32 v7, v2
	s_nop 0
	v_addc_co_u32_e32 v13, vcc, 0, v13, vcc
	v_lshl_add_u64 v[6:7], v[6:7], 0, v[12:13]
	v_mul_lo_u32 v1, s29, v6
	v_mul_lo_u32 v3, s28, v7
	v_mad_u64_u32 v[12:13], s[2:3], s28, v6, 0
	v_add3_u32 v1, v13, v3, v1
	v_sub_u32_e32 v3, v11, v1
	v_mov_b32_e32 v13, s29
	v_sub_co_u32_e32 v16, vcc, v10, v12
	v_lshl_add_u64 v[14:15], v[6:7], 0, 1
	s_nop 0
	v_subb_co_u32_e64 v3, s[2:3], v3, v13, vcc
	v_subrev_co_u32_e64 v12, s[2:3], s28, v16
	v_subb_co_u32_e32 v1, vcc, v11, v1, vcc
	s_nop 0
	v_subbrev_co_u32_e64 v3, s[2:3], 0, v3, s[2:3]
	v_cmp_le_u32_e64 s[2:3], s29, v3
	v_cmp_le_u32_e32 vcc, s29, v1
	s_nop 0
	v_cndmask_b32_e64 v13, 0, -1, s[2:3]
	v_cmp_le_u32_e64 s[2:3], s28, v12
	s_nop 1
	v_cndmask_b32_e64 v12, 0, -1, s[2:3]
	v_cmp_eq_u32_e64 s[2:3], s29, v3
	s_nop 1
	v_cndmask_b32_e64 v3, v13, v12, s[2:3]
	v_lshl_add_u64 v[12:13], v[6:7], 0, 2
	v_cmp_ne_u32_e64 s[2:3], 0, v3
	s_nop 1
	v_cndmask_b32_e64 v3, v15, v13, s[2:3]
	v_cndmask_b32_e64 v13, 0, -1, vcc
	v_cmp_le_u32_e32 vcc, s28, v16
	s_nop 1
	v_cndmask_b32_e64 v15, 0, -1, vcc
	v_cmp_eq_u32_e32 vcc, s29, v1
	s_nop 1
	v_cndmask_b32_e32 v1, v13, v15, vcc
	v_cmp_ne_u32_e32 vcc, 0, v1
	v_cndmask_b32_e64 v1, v14, v12, s[2:3]
	s_nop 0
	v_cndmask_b32_e32 v7, v7, v3, vcc
	v_cndmask_b32_e32 v6, v6, v1, vcc
.LBB0_4:                                ;   in Loop: Header=BB0_2 Depth=1
	s_andn2_saveexec_b64 s[2:3], s[30:31]
	s_cbranch_execz .LBB0_6
; %bb.5:                                ;   in Loop: Header=BB0_2 Depth=1
	v_cvt_f32_u32_e32 v1, s28
	s_sub_i32 s30, 0, s28
	v_rcp_iflag_f32_e32 v1, v1
	s_nop 0
	v_mul_f32_e32 v1, 0x4f7ffffe, v1
	v_cvt_u32_f32_e32 v1, v1
	v_mul_lo_u32 v3, s30, v1
	v_mul_hi_u32 v3, v1, v3
	v_add_u32_e32 v1, v1, v3
	v_mul_hi_u32 v1, v10, v1
	v_mul_lo_u32 v3, v1, s28
	v_sub_u32_e32 v3, v10, v3
	v_add_u32_e32 v6, 1, v1
	v_subrev_u32_e32 v7, s28, v3
	v_cmp_le_u32_e32 vcc, s28, v3
	s_nop 1
	v_cndmask_b32_e32 v3, v3, v7, vcc
	v_cndmask_b32_e32 v1, v1, v6, vcc
	v_add_u32_e32 v6, 1, v1
	v_cmp_le_u32_e32 vcc, s28, v3
	v_mov_b32_e32 v7, v2
	s_nop 0
	v_cndmask_b32_e32 v6, v1, v6, vcc
.LBB0_6:                                ;   in Loop: Header=BB0_2 Depth=1
	s_or_b64 exec, exec, s[2:3]
	v_mad_u64_u32 v[12:13], s[2:3], v6, s28, 0
	s_load_dwordx2 s[2:3], s[22:23], 0x0
	v_mul_lo_u32 v1, v7, s28
	v_mul_lo_u32 v3, v6, s29
	s_load_dwordx2 s[28:29], s[20:21], 0x0
	s_add_u32 s26, s26, 1
	v_add3_u32 v1, v13, v3, v1
	v_sub_co_u32_e32 v3, vcc, v10, v12
	s_addc_u32 s27, s27, 0
	s_nop 0
	v_subb_co_u32_e32 v1, vcc, v11, v1, vcc
	s_add_u32 s20, s20, 8
	s_waitcnt lgkmcnt(0)
	v_mul_lo_u32 v10, s2, v1
	v_mul_lo_u32 v11, s3, v3
	v_mad_u64_u32 v[8:9], s[2:3], s2, v3, v[8:9]
	s_addc_u32 s21, s21, 0
	v_add3_u32 v9, v11, v9, v10
	v_mul_lo_u32 v1, s28, v1
	v_mul_lo_u32 v10, s29, v3
	v_mad_u64_u32 v[4:5], s[2:3], s28, v3, v[4:5]
	s_add_u32 s22, s22, 8
	v_add3_u32 v5, v10, v5, v1
	s_addc_u32 s23, s23, 0
	v_mov_b64_e32 v[10:11], s[6:7]
	s_add_u32 s24, s24, 8
	v_cmp_ge_u64_e32 vcc, s[26:27], v[10:11]
	s_addc_u32 s25, s25, 0
	s_cbranch_vccnz .LBB0_9
; %bb.7:                                ;   in Loop: Header=BB0_2 Depth=1
	v_mov_b64_e32 v[10:11], v[6:7]
	s_branch .LBB0_2
.LBB0_8:
	v_mov_b64_e32 v[4:5], v[8:9]
	v_mov_b64_e32 v[6:7], v[10:11]
.LBB0_9:
	s_load_dwordx2 s[0:1], s[0:1], 0x28
	s_lshl_b64 s[20:21], s[6:7], 3
	s_mov_b32 s6, 0x1e1e1e2
	v_mul_hi_u32 v1, v0, s6
	v_mul_u32_u24_e32 v1, 0x88, v1
	s_waitcnt lgkmcnt(0)
	v_cmp_gt_u64_e32 vcc, s[0:1], v[6:7]
	v_sub_u32_e32 v130, v0, v1
	s_movk_i32 s0, 0x68
	s_add_u32 s2, s14, s20
	v_cmp_gt_u32_e64 s[0:1], s0, v130
	v_mov_b32_e32 v27, 0
	s_addc_u32 s3, s15, s21
	s_and_b64 s[14:15], vcc, s[0:1]
	v_mov_b32_e32 v12, v27
                                        ; implicit-def: $vgpr54
                                        ; implicit-def: $vgpr16
                                        ; implicit-def: $vgpr24
                                        ; implicit-def: $vgpr18
                                        ; implicit-def: $vgpr14
                                        ; implicit-def: $vgpr20
                                        ; implicit-def: $vgpr40
                                        ; implicit-def: $vgpr28
                                        ; implicit-def: $vgpr42
                                        ; implicit-def: $vgpr30
                                        ; implicit-def: $vgpr48
                                        ; implicit-def: $vgpr32
                                        ; implicit-def: $vgpr44
                                        ; implicit-def: $vgpr2
                                        ; implicit-def: $vgpr46
                                        ; implicit-def: $vgpr0
	s_and_saveexec_b64 s[6:7], s[14:15]
	s_cbranch_execz .LBB0_11
; %bb.10:
	s_add_u32 s12, s12, s20
	s_addc_u32 s13, s13, s21
	s_load_dwordx2 s[12:13], s[12:13], 0x0
	v_add_u32_e32 v15, 0x138, v130
	v_add_u32_e32 v17, 0x208, v130
	;; [unrolled: 1-line block ×3, first 2 shown]
	s_waitcnt lgkmcnt(0)
	v_mul_lo_u32 v2, s13, v6
	v_mul_lo_u32 v3, s12, v7
	v_mad_u64_u32 v[0:1], s[12:13], s12, v6, 0
	v_add3_u32 v1, v1, v3, v2
	v_mad_u64_u32 v[2:3], s[12:13], s18, v130, 0
	v_mov_b32_e32 v10, v3
	v_mad_u64_u32 v[10:11], s[12:13], s19, v130, v[10:11]
	v_lshl_add_u64 v[0:1], v[0:1], 3, s[8:9]
	v_mov_b32_e32 v3, v10
	v_lshl_add_u64 v[0:1], v[8:9], 3, v[0:1]
	v_lshl_add_u64 v[2:3], v[2:3], 3, v[0:1]
	v_add_u32_e32 v9, 0x68, v130
	global_load_dwordx2 v[12:13], v[2:3], off
	v_mad_u64_u32 v[2:3], s[8:9], s18, v9, 0
	v_mov_b32_e32 v8, v3
	v_mad_u64_u32 v[8:9], s[8:9], s19, v9, v[8:9]
	v_mov_b32_e32 v3, v8
	v_add_u32_e32 v11, 0xd0, v130
	v_lshl_add_u64 v[8:9], v[2:3], 3, v[0:1]
	v_mad_u64_u32 v[2:3], s[8:9], s18, v11, 0
	v_mov_b32_e32 v10, v3
	v_mad_u64_u32 v[10:11], s[8:9], s19, v11, v[10:11]
	v_mov_b32_e32 v3, v10
	v_lshl_add_u64 v[10:11], v[2:3], 3, v[0:1]
	v_mad_u64_u32 v[2:3], s[8:9], s18, v15, 0
	v_mov_b32_e32 v14, v3
	v_mad_u64_u32 v[14:15], s[8:9], s19, v15, v[14:15]
	v_mov_b32_e32 v3, v14
	v_add_u32_e32 v15, 0x1a0, v130
	v_lshl_add_u64 v[22:23], v[2:3], 3, v[0:1]
	v_mad_u64_u32 v[2:3], s[8:9], s18, v15, 0
	v_mov_b32_e32 v14, v3
	v_mad_u64_u32 v[14:15], s[8:9], s19, v15, v[14:15]
	v_mov_b32_e32 v3, v14
	;; [unrolled: 2-line block ×4, first 2 shown]
	v_add_u32_e32 v17, 0x270, v130
	v_lshl_add_u64 v[26:27], v[14:15], 3, v[0:1]
	v_mad_u64_u32 v[14:15], s[8:9], s18, v17, 0
	v_mov_b32_e32 v16, v15
	v_mad_u64_u32 v[16:17], s[8:9], s19, v17, v[16:17]
	v_mov_b32_e32 v15, v16
	v_add_u32_e32 v17, 0x2d8, v130
	v_lshl_add_u64 v[28:29], v[14:15], 3, v[0:1]
	v_mad_u64_u32 v[14:15], s[8:9], s18, v17, 0
	v_mov_b32_e32 v16, v15
	v_mad_u64_u32 v[16:17], s[8:9], s19, v17, v[16:17]
	v_mov_b32_e32 v15, v16
	v_add_u32_e32 v17, 0x340, v130
	v_lshl_add_u64 v[30:31], v[14:15], 3, v[0:1]
	v_mad_u64_u32 v[14:15], s[8:9], s18, v17, 0
	v_mov_b32_e32 v16, v15
	v_mad_u64_u32 v[16:17], s[8:9], s19, v17, v[16:17]
	v_mov_b32_e32 v15, v16
	v_mad_u64_u32 v[16:17], s[8:9], s18, v19, 0
	v_mov_b32_e32 v18, v17
	v_mad_u64_u32 v[18:19], s[8:9], s19, v19, v[18:19]
	v_mov_b32_e32 v17, v18
	v_add_u32_e32 v19, 0x410, v130
	v_lshl_add_u64 v[24:25], v[16:17], 3, v[0:1]
	v_mad_u64_u32 v[16:17], s[8:9], s18, v19, 0
	v_mov_b32_e32 v18, v17
	v_mad_u64_u32 v[18:19], s[8:9], s19, v19, v[18:19]
	v_mov_b32_e32 v17, v18
	v_add_u32_e32 v19, 0x478, v130
	v_lshl_add_u64 v[32:33], v[16:17], 3, v[0:1]
	v_mad_u64_u32 v[16:17], s[8:9], s18, v19, 0
	v_mov_b32_e32 v18, v17
	v_mad_u64_u32 v[18:19], s[8:9], s19, v19, v[18:19]
	v_lshl_add_u64 v[14:15], v[14:15], 3, v[0:1]
	v_mov_b32_e32 v17, v18
	v_lshl_add_u64 v[34:35], v[16:17], 3, v[0:1]
	global_load_dwordx2 v[16:17], v[14:15], off
	global_load_dwordx2 v[54:55], v[24:25], off
	;; [unrolled: 1-line block ×4, first 2 shown]
	v_add_u32_e32 v25, 0x4e0, v130
	v_mad_u64_u32 v[14:15], s[8:9], s18, v25, 0
	v_mov_b32_e32 v24, v15
	v_mad_u64_u32 v[24:25], s[8:9], s19, v25, v[24:25]
	v_mov_b32_e32 v15, v24
	v_add_u32_e32 v25, 0x548, v130
	v_lshl_add_u64 v[34:35], v[14:15], 3, v[0:1]
	v_mad_u64_u32 v[14:15], s[8:9], s18, v25, 0
	v_mov_b32_e32 v24, v15
	v_mad_u64_u32 v[24:25], s[8:9], s19, v25, v[24:25]
	v_mov_b32_e32 v15, v24
	v_lshl_add_u64 v[2:3], v[2:3], 3, v[0:1]
	v_lshl_add_u64 v[36:37], v[14:15], 3, v[0:1]
	global_load_dwordx2 v[24:25], v[30:31], off
	global_load_dwordx2 v[14:15], v[28:29], off
	;; [unrolled: 1-line block ×4, first 2 shown]
	v_add_u32_e32 v27, 0x5b0, v130
	v_mad_u64_u32 v[2:3], s[8:9], s18, v27, 0
	v_mov_b32_e32 v26, v3
	v_mad_u64_u32 v[26:27], s[8:9], s19, v27, v[26:27]
	v_mov_b32_e32 v3, v26
	v_add_u32_e32 v29, 0x618, v130
	v_lshl_add_u64 v[26:27], v[2:3], 3, v[0:1]
	v_mad_u64_u32 v[2:3], s[8:9], s18, v29, 0
	v_mov_b32_e32 v28, v3
	v_mad_u64_u32 v[28:29], s[8:9], s19, v29, v[28:29]
	v_mov_b32_e32 v3, v28
	v_lshl_add_u64 v[38:39], v[2:3], 3, v[0:1]
	global_load_dwordx2 v[28:29], v[34:35], off
	global_load_dwordx2 v[30:31], v[36:37], off
	;; [unrolled: 1-line block ×4, first 2 shown]
	v_or_b32_e32 v35, 0x680, v130
	v_mad_u64_u32 v[26:27], s[8:9], s18, v35, 0
	v_mov_b32_e32 v34, v27
	v_mad_u64_u32 v[34:35], s[8:9], s19, v35, v[34:35]
	v_mov_b32_e32 v27, v34
	v_lshl_add_u64 v[26:27], v[26:27], 3, v[0:1]
	global_load_dwordx2 v[48:49], v[22:23], off
	global_load_dwordx2 v[44:45], v[10:11], off
	;; [unrolled: 1-line block ×4, first 2 shown]
	s_waitcnt vmcnt(16)
	v_mov_b32_e32 v27, v13
	s_waitcnt vmcnt(14)
	v_mov_b32_e32 v26, v55
.LBB0_11:
	s_or_b64 exec, exec, s[6:7]
	s_waitcnt vmcnt(0)
	v_pk_add_f32 v[66:67], v[46:47], v[0:1]
	v_pk_add_f32 v[64:65], v[44:45], v[2:3]
	s_mov_b32 s9, 0x3dbcf732
	s_mov_b32 s22, 0xbf06c442
	v_pk_add_f32 v[52:53], v[46:47], v[0:1] neg_lo:[0,1] neg_hi:[0,1]
	v_pk_add_f32 v[22:23], v[44:45], v[2:3] neg_lo:[0,1] neg_hi:[0,1]
	v_mov_b32_e32 v8, v66
	v_mov_b32_e32 v9, v64
	s_mov_b32 s13, 0xbf7ba420
	s_mov_b32 s12, s9
	;; [unrolled: 1-line block ×6, first 2 shown]
	v_pk_mul_f32 v[80:81], v[8:9], s[12:13]
	v_mov_b32_e32 v8, v53
	v_mov_b32_e32 v9, v23
	s_mov_b32 s21, 0xbe3c28d5
	s_mov_b32 s7, 0x3f6eb680
	;; [unrolled: 1-line block ×6, first 2 shown]
	v_pk_mul_f32 v[82:83], v[8:9], s[20:21]
	v_pk_mul_f32 v[84:85], v[66:67], s[18:19] op_sel_hi:[0,1]
	v_pk_mul_f32 v[86:87], v[52:53], s[30:31] op_sel:[1,0]
	s_mov_b32 s19, 0xbf1a4643
	s_mov_b32 s18, s9
	;; [unrolled: 1-line block ×4, first 2 shown]
	v_pk_mul_f32 v[88:89], v[64:65], s[18:19] op_sel_hi:[0,1]
	v_pk_mul_f32 v[90:91], v[22:23], s[26:27] op_sel:[1,0]
	v_mov_b32_e32 v8, v82
	v_mov_b32_e32 v9, v86
	;; [unrolled: 1-line block ×4, first 2 shown]
	v_pk_add_f32 v[8:9], v[8:9], v[10:11]
	v_mov_b32_e32 v10, v83
	v_mov_b32_e32 v11, v90
	;; [unrolled: 1-line block ×4, first 2 shown]
	v_pk_add_f32 v[10:11], v[10:11], v[34:35]
	v_pk_add_f32 v[8:9], v[12:13], v[8:9] op_sel_hi:[0,1]
	v_pk_add_f32 v[70:71], v[48:49], v[32:33]
	v_pk_add_f32 v[68:69], v[42:43], v[30:31]
	s_mov_b32 s12, 0xbe8c1d8e
	s_mov_b32 s28, 0x3f2c7751
	v_pk_add_f32 v[8:9], v[8:9], v[10:11]
	v_mov_b32_e32 v10, v68
	v_mov_b32_e32 v11, v70
	s_mov_b32 s24, s7
	s_mov_b32 s25, s12
	v_pk_add_f32 v[58:59], v[48:49], v[32:33] neg_lo:[0,1] neg_hi:[0,1]
	v_pk_add_f32 v[56:57], v[42:43], v[30:31] neg_lo:[0,1] neg_hi:[0,1]
	s_mov_b32 s29, 0x3eb8f4ab
	v_pk_mul_f32 v[100:101], v[10:11], s[24:25]
	v_mov_b32_e32 v10, v57
	v_mov_b32_e32 v11, v59
	s_mov_b32 s35, 0x3f763a35
	s_mov_b32 s34, s29
	;; [unrolled: 1-line block ×6, first 2 shown]
	v_pk_mul_f32 v[102:103], v[10:11], s[34:35]
	v_pk_mul_f32 v[92:93], v[58:59], s[40:41] op_sel:[1,0]
	v_pk_mul_f32 v[94:95], v[70:71], s[24:25] op_sel_hi:[0,1]
	v_mov_b32_e32 v10, v103
	v_mov_b32_e32 v11, v92
	;; [unrolled: 1-line block ×4, first 2 shown]
	s_mov_b32 s24, s13
	s_mov_b32 s25, s12
	;; [unrolled: 1-line block ×3, first 2 shown]
	v_pk_add_f32 v[10:11], v[10:11], v[34:35]
	v_pk_mul_f32 v[96:97], v[56:57], s[34:35] op_sel:[1,0]
	v_pk_mul_f32 v[98:99], v[68:69], s[24:25] op_sel_hi:[0,1]
	v_pk_add_f32 v[8:9], v[10:11], v[8:9]
	v_mov_b32_e32 v10, v102
	v_mov_b32_e32 v11, v96
	;; [unrolled: 1-line block ×4, first 2 shown]
	v_pk_add_f32 v[10:11], v[10:11], v[34:35]
	v_pk_add_f32 v[74:75], v[40:41], v[28:29]
	;; [unrolled: 1-line block ×4, first 2 shown]
	v_mov_b32_e32 v10, v72
	v_mov_b32_e32 v11, v74
	s_mov_b32 s24, 0xbf59a7d5
	s_mov_b32 s25, s14
	v_pk_add_f32 v[62:63], v[40:41], v[28:29] neg_lo:[0,1] neg_hi:[0,1]
	v_pk_add_f32 v[60:61], v[14:15], v[20:21] neg_lo:[0,1] neg_hi:[0,1]
	v_pk_mul_f32 v[112:113], v[10:11], s[24:25]
	v_mov_b32_e32 v10, v61
	v_mov_b32_e32 v11, v63
	s_mov_b32 s25, s6
	s_mov_b32 s36, 0x3f06c442
	;; [unrolled: 1-line block ×3, first 2 shown]
	v_pk_mul_f32 v[114:115], v[10:11], s[22:23]
	v_pk_mul_f32 v[104:105], v[62:63], s[36:37] op_sel:[1,0]
	v_pk_mul_f32 v[106:107], v[74:75], s[24:25] op_sel_hi:[0,1]
	v_mov_b32_e32 v10, v115
	v_mov_b32_e32 v11, v104
	;; [unrolled: 1-line block ×4, first 2 shown]
	s_mov_b32 s38, s12
	s_mov_b32 s39, s7
	;; [unrolled: 1-line block ×4, first 2 shown]
	v_pk_add_f32 v[10:11], v[10:11], v[34:35]
	v_pk_mul_f32 v[108:109], v[60:61], s[44:45] op_sel:[1,0]
	v_pk_mul_f32 v[110:111], v[72:73], s[38:39] op_sel_hi:[0,1]
	v_pk_add_f32 v[8:9], v[10:11], v[8:9]
	v_mov_b32_e32 v10, v114
	v_mov_b32_e32 v11, v108
	;; [unrolled: 1-line block ×4, first 2 shown]
	s_mov_b32 s15, s9
	s_mov_b32 s38, 0x3f65296c
	;; [unrolled: 1-line block ×3, first 2 shown]
	v_pk_add_f32 v[38:39], v[24:25], v[18:19] neg_lo:[0,1] neg_hi:[0,1]
	v_pk_add_f32 v[50:51], v[24:25], v[18:19]
	v_pk_add_f32 v[10:11], v[10:11], v[34:35]
	v_pk_mul_f32 v[120:121], v[38:39], s[38:39] op_sel:[1,0]
	v_pk_mul_f32 v[122:123], v[50:51], s[14:15] op_sel_hi:[0,1]
	v_pk_add_f32 v[8:9], v[10:11], v[8:9]
	v_mul_f32_e32 v10, 0x3f4c4adb, v39
	v_mov_b32_e32 v11, v120
	v_mul_f32_e32 v78, 0xbf1a4643, v50
	v_mov_b32_e32 v79, v122
	v_pk_add_f32 v[34:35], v[10:11], v[78:79]
	v_add_f32_e32 v11, v87, v85
	v_add_f32_e32 v11, v12, v11
	;; [unrolled: 1-line block ×7, first 2 shown]
	v_mov_b32_e32 v55, v26
	v_add_f32_e32 v11, v13, v11
	v_add_f32_e32 v13, v105, v107
	v_pk_add_f32 v[8:9], v[34:35], v[8:9]
	v_pk_add_f32 v[34:35], v[16:17], v[54:55]
	v_add_f32_e32 v11, v13, v11
	v_add_f32_e32 v13, v109, v111
	v_pk_add_f32 v[36:37], v[16:17], v[54:55] neg_lo:[0,1] neg_hi:[0,1]
	v_pk_mul_f32 v[76:77], v[34:35], s[6:7] op_sel_hi:[0,1]
	v_add_f32_e32 v11, v13, v11
	v_add_f32_e32 v13, v121, v123
	v_mul_f32_e32 v79, 0xbf59a7d5, v34
	v_pk_fma_f32 v[116:117], v[36:37], s[28:29], v[76:77] op_sel:[1,0,0]
	v_add_f32_e32 v11, v13, v11
	v_fmamk_f32 v13, v37, 0xbf06c442, v79
	v_pk_add_f32 v[8:9], v[116:117], v[8:9]
	s_mov_b32 s42, 0x3f4c4adb
	v_add_f32_e32 v11, v13, v11
	s_and_saveexec_b64 s[46:47], s[0:1]
	s_cbranch_execz .LBB0_13
; %bb.12:
	v_mov_b32_e32 v118, v59
	v_mov_b32_e32 v119, v23
	s_mov_b32 s50, s28
	s_mov_b32 s51, s36
	v_mov_b32_e32 v116, v70
	v_mov_b32_e32 v117, v64
	s_mov_b32 s48, s6
	s_mov_b32 s49, s24
	v_pk_mul_f32 v[118:119], v[118:119], s[50:51]
	s_mov_b32 s39, 0xbf763a35
	v_pk_fma_f32 v[124:125], v[116:117], s[48:49], v[118:119]
	v_pk_fma_f32 v[116:117], v[116:117], s[48:49], v[118:119] neg_lo:[0,0,1] neg_hi:[0,0,1]
	v_mov_b32_e32 v67, v53
	s_mov_b32 s48, s12
	s_mov_b32 s49, s39
	v_pk_mul_f32 v[118:119], v[66:67], s[48:49]
	v_mov_b32_e32 v56, v117
	v_mov_b32_e32 v52, v119
	v_pk_fma_f32 v[126:127], v[66:67], s[48:49], v[52:53] neg_lo:[0,0,1] neg_hi:[0,0,1]
	v_mov_b32_e32 v52, v12
	v_pk_add_f32 v[126:127], v[52:53], v[126:127]
	v_mov_b32_e32 v55, v12
	v_pk_add_f32 v[126:127], v[126:127], v[56:57]
	v_mov_b32_e32 v128, v63
	v_mov_b32_e32 v129, v57
	s_mov_b32 s52, s21
	s_mov_b32 s53, s23
	v_add_f32_e32 v13, v119, v118
	v_pk_add_f32 v[116:117], v[116:117], v[126:127]
	v_mov_b32_e32 v126, v74
	v_mov_b32_e32 v127, v68
	s_mov_b32 s50, s13
	s_mov_b32 s51, s14
	v_pk_mul_f32 v[128:129], v[128:129], s[52:53]
	v_add_f32_e32 v13, v55, v13
	v_pk_fma_f32 v[132:133], v[126:127], s[50:51], v[128:129]
	v_pk_fma_f32 v[126:127], v[126:127], s[50:51], v[128:129] neg_lo:[0,0,1] neg_hi:[0,0,1]
	v_add_f32_e32 v13, v13, v125
	s_mov_b32 s44, 0x3f7ee86f
	v_mov_b32_e32 v56, v127
	v_add_f32_e32 v13, v124, v13
	v_mov_b32_e32 v124, v39
	v_mov_b32_e32 v125, v61
	s_mov_b32 s50, s45
	s_mov_b32 s51, s44
	v_pk_add_f32 v[116:117], v[56:57], v[116:117]
	s_mov_b32 s8, s7
	v_mov_b32_e32 v118, v50
	v_mov_b32_e32 v119, v72
	v_pk_mul_f32 v[124:125], v[124:125], s[50:51]
	v_pk_add_f32 v[80:81], v[80:81], v[82:83] neg_lo:[0,1] neg_hi:[0,1]
	v_pk_add_f32 v[116:117], v[126:127], v[116:117]
	v_pk_fma_f32 v[126:127], v[118:119], s[8:9], v[124:125]
	v_pk_fma_f32 v[124:125], v[118:119], s[8:9], v[124:125] neg_lo:[0,0,1] neg_hi:[0,0,1]
	v_sub_f32_e32 v118, v78, v10
	v_pk_add_f32 v[82:83], v[52:53], v[80:81]
	v_mov_b32_e32 v10, v81
	v_add_f32_e32 v13, v133, v13
	v_pk_add_f32 v[80:81], v[82:83], v[10:11]
	v_pk_add_f32 v[82:83], v[100:101], v[102:103] neg_lo:[0,1] neg_hi:[0,1]
	v_add_f32_e32 v13, v132, v13
	v_mov_b32_e32 v56, v125
	v_mov_b32_e32 v10, v83
	v_add_f32_e32 v13, v127, v13
	v_pk_add_f32 v[116:117], v[56:57], v[116:117]
	v_pk_add_f32 v[80:81], v[10:11], v[80:81]
	v_mul_f32_e32 v119, 0xbf1a4643, v34
	v_add_f32_e32 v13, v126, v13
	v_pk_add_f32 v[116:117], v[124:125], v[116:117]
	v_pk_add_f32 v[80:81], v[82:83], v[80:81]
	v_fmamk_f32 v10, v37, 0xbf4c4adb, v119
	v_pk_add_f32 v[82:83], v[112:113], v[114:115] neg_lo:[0,1] neg_hi:[0,1]
	v_add_f32_e32 v117, v10, v13
	v_mov_b32_e32 v10, v83
	s_mov_b32 s50, s7
	s_mov_b32 s51, s45
	v_mov_b32_e32 v65, v23
	v_pk_add_f32 v[80:81], v[10:11], v[80:81]
	v_mov_b32_e32 v102, v68
	v_mov_b32_e32 v103, v68
	s_mov_b32 s25, s19
	v_pk_add_f32 v[92:93], v[94:95], v[92:93] neg_lo:[0,1] neg_hi:[0,1]
	v_pk_add_f32 v[94:95], v[98:99], v[96:97] neg_lo:[0,1] neg_hi:[0,1]
	;; [unrolled: 1-line block ×3, first 2 shown]
	v_pk_mul_f32 v[104:105], v[66:67], s[50:51]
	s_mov_b32 s52, s6
	s_mov_b32 s53, s30
	v_pk_add_f32 v[114:115], v[52:53], v[46:47]
	v_pk_add_f32 v[100:101], v[82:83], v[80:81]
	v_pk_add_f32 v[88:89], v[88:89], v[90:91] neg_lo:[0,1] neg_hi:[0,1]
	v_mov_b32_e32 v90, v50
	v_mov_b32_e32 v91, v39
	v_pk_mul_f32 v[82:83], v[102:103], s[24:25]
	v_pk_mul_f32 v[106:107], v[64:65], s[52:53]
	s_mov_b32 s25, s22
	v_add_f32_e32 v13, v105, v104
	v_pk_add_f32 v[114:115], v[114:115], v[44:45]
	v_mov_b32_e32 v80, v34
	v_mov_b32_e32 v81, v34
	v_pk_add_f32 v[84:85], v[84:85], v[86:87] neg_lo:[0,1] neg_hi:[0,1]
	v_mov_b32_e32 v86, v34
	v_mov_b32_e32 v87, v37
	s_mov_b32 s15, s12
	v_pk_add_f32 v[98:99], v[110:111], v[108:109] neg_lo:[0,1] neg_hi:[0,1]
	v_pk_mul_f32 v[108:109], v[90:91], s[24:25]
	s_mov_b32 s54, s13
	s_mov_b32 s55, s21
	v_add_f32_e32 v10, v107, v106
	v_add_f32_e32 v13, v55, v13
	v_pk_add_f32 v[114:115], v[114:115], v[48:49]
	v_mov_b32_e32 v71, v59
	v_pk_mul_f32 v[80:81], v[80:81], s[14:15]
	s_mov_b32 s15, s23
	v_add_f32_e32 v10, v13, v10
	v_mov_b32_e32 v13, v108
	v_pk_mul_f32 v[110:111], v[86:87], s[54:55]
	v_pk_add_f32 v[114:115], v[114:115], v[42:43]
	v_pk_fma_f32 v[90:91], v[90:91], s[24:25], v[12:13] neg_lo:[1,0,0] neg_hi:[1,0,0]
	v_mov_b32_e32 v13, v110
	v_pk_mul_f32 v[112:113], v[70:71], s[14:15]
	v_pk_add_f32 v[114:115], v[114:115], v[40:41]
	v_pk_fma_f32 v[86:87], v[86:87], s[54:55], v[12:13] neg_lo:[1,0,0] neg_hi:[1,0,0]
	v_add_f32_e32 v13, v113, v112
	v_pk_add_f32 v[114:115], v[114:115], v[14:15]
	v_add_f32_e32 v10, v13, v10
	v_mov_b32_e32 v13, v104
	v_pk_add_f32 v[114:115], v[114:115], v[24:25]
	v_mov_b32_e32 v69, v57
	s_mov_b32 s54, s9
	s_mov_b32 s55, s20
	v_pk_fma_f32 v[104:105], v[66:67], s[50:51], v[12:13] neg_lo:[1,0,0] neg_hi:[1,0,0]
	v_pk_add_f32 v[114:115], v[114:115], v[16:17]
	v_mov_b32_e32 v75, v63
	v_mov_b32_e32 v115, v105
	v_pk_mul_f32 v[104:105], v[68:69], s[54:55]
	v_mov_b32_e32 v73, v61
	v_add_f32_e32 v13, v105, v104
	v_pk_add_f32 v[54:55], v[114:115], v[54:55]
	v_pk_mul_f32 v[114:115], v[74:75], s[48:49]
	s_mov_b32 s26, s19
	v_pk_add_f32 v[102:103], v[122:123], v[120:121] neg_lo:[0,1] neg_hi:[0,1]
	v_add_f32_e32 v10, v13, v10
	v_add_f32_e32 v13, v115, v114
	v_pk_mul_f32 v[120:121], v[72:73], s[26:27]
	v_add_f32_e32 v10, v13, v10
	v_add_f32_e32 v13, v121, v120
	v_add_f32_e32 v10, v13, v10
	v_add_f32_e32 v13, v109, v108
	v_add_f32_e32 v10, v13, v10
	v_mov_b32_e32 v13, v106
	v_pk_fma_f32 v[106:107], v[64:65], s[52:53], v[12:13] neg_lo:[1,0,0] neg_hi:[1,0,0]
	v_mov_b32_e32 v13, v112
	v_pk_fma_f32 v[108:109], v[70:71], s[14:15], v[12:13] neg_lo:[1,0,0] neg_hi:[1,0,0]
	;; [unrolled: 2-line block ×3, first 2 shown]
	v_mov_b32_e32 v13, v114
	v_add_f32_e32 v16, v111, v110
	v_pk_fma_f32 v[110:111], v[74:75], s[48:49], v[12:13] neg_lo:[1,0,0] neg_hi:[1,0,0]
	v_mov_b32_e32 v13, v120
	v_pk_fma_f32 v[112:113], v[72:73], s[26:27], v[12:13] neg_lo:[1,0,0] neg_hi:[1,0,0]
	v_mov_b32_e32 v13, v12
	v_pk_add_f32 v[84:85], v[12:13], v[84:85]
	v_mov_b32_e32 v106, v18
	v_pk_add_f32 v[84:85], v[84:85], v[88:89]
	v_pk_add_f32 v[54:55], v[54:55], v[106:107]
	;; [unrolled: 1-line block ×3, first 2 shown]
	v_mov_b32_e32 v106, v66
	v_pk_add_f32 v[84:85], v[94:95], v[84:85]
	v_mov_b32_e32 v107, v66
	v_mov_b32_e32 v108, v20
	;; [unrolled: 1-line block ×3, first 2 shown]
	v_pk_mul_f32 v[92:93], v[36:37], s[28:29] op_sel:[1,0]
	v_mul_f32_e32 v2, 0xbf7ba420, v66
	v_pk_add_f32 v[66:67], v[96:97], v[84:85]
	v_pk_add_f32 v[54:55], v[54:55], v[108:109]
	v_mov_b32_e32 v108, v64
	v_mov_b32_e32 v109, v64
	v_mul_f32_e32 v65, 0xbf06c442, v37
	v_add_f32_e32 v95, v16, v10
	v_mul_f32_e32 v16, 0x3f6eb680, v64
	v_pk_add_f32 v[66:67], v[98:99], v[66:67]
	v_mov_b32_e32 v78, v77
	v_mov_b32_e32 v64, v93
	s_movk_i32 s15, 0x44
	v_pk_add_f32 v[66:67], v[102:103], v[66:67]
	v_pk_add_f32 v[64:65], v[78:79], v[64:65] neg_lo:[0,1] neg_hi:[0,1]
	v_mad_u32_u24 v73, v130, s15, 0
	v_pk_add_f32 v[64:65], v[64:65], v[66:67]
	ds_write2_b32 v73, v64, v65 offset0:2 offset1:3
	v_mul_f32_e32 v65, 0xbf4c4adb, v37
	v_mov_b32_e32 v64, v100
	v_pk_add_f32 v[76:77], v[76:77], v[92:93] neg_lo:[0,1] neg_hi:[0,1]
	v_pk_add_f32 v[92:93], v[118:119], v[100:101]
	v_pk_add_f32 v[64:65], v[118:119], v[64:65] neg_lo:[0,1] neg_hi:[0,1]
	v_mov_b32_e32 v104, v28
	v_mov_b32_e32 v93, v65
	;; [unrolled: 1-line block ×3, first 2 shown]
	s_mov_b32 s48, s19
	s_mov_b32 s49, s24
	v_mov_b32_e32 v52, v53
	v_pk_add_f32 v[54:55], v[54:55], v[104:105]
	v_mov_b32_e32 v110, v30
	v_pk_mul_f32 v[98:99], v[106:107], s[48:49]
	s_mov_b32 s48, s27
	s_mov_b32 s49, s22
	;; [unrolled: 1-line block ×4, first 2 shown]
	v_pk_add_f32 v[76:77], v[92:93], v[76:77]
	v_mov_b32_e32 v104, v23
	v_mov_b32_e32 v105, v23
	v_pk_add_f32 v[54:55], v[54:55], v[110:111]
	v_mov_b32_e32 v110, v70
	v_mov_b32_e32 v111, v70
	v_pk_mul_f32 v[100:101], v[108:109], s[50:51]
	s_mov_b32 s50, s35
	s_mov_b32 s51, s38
	ds_write2_b32 v73, v76, v77 offset0:4 offset1:5
	v_pk_fma_f32 v[76:77], v[52:53], s[48:49], v[98:99] neg_lo:[1,0,0] neg_hi:[1,0,0]
	v_mov_b32_e32 v58, v59
	v_mov_b32_e32 v112, v32
	v_pk_mul_f32 v[102:103], v[110:111], s[8:9]
	s_mov_b32 s52, s45
	s_mov_b32 s53, s20
	v_pk_add_f32 v[76:77], v[12:13], v[76:77]
	v_pk_fma_f32 v[92:93], v[104:105], s[50:51], v[100:101] neg_lo:[1,0,0] neg_hi:[1,0,0]
	v_mov_b32_e32 v56, v57
	v_pk_add_f32 v[54:55], v[54:55], v[112:113]
	v_mov_b32_e32 v112, v74
	v_mov_b32_e32 v113, v74
	s_mov_b32 s54, s22
	s_mov_b32 s55, s42
	;; [unrolled: 1-line block ×4, first 2 shown]
	v_pk_add_f32 v[76:77], v[76:77], v[92:93]
	v_pk_fma_f32 v[92:93], v[58:59], s[52:53], v[102:103] neg_lo:[1,0,0] neg_hi:[1,0,0]
	v_mov_b32_e32 v62, v63
	v_pk_add_f32 v[54:55], v[54:55], v[90:91]
	v_mov_b32_e32 v90, v72
	v_mov_b32_e32 v91, v72
	;; [unrolled: 1-line block ×3, first 2 shown]
	v_pk_mul_f32 v[106:107], v[112:113], s[56:57]
	s_mov_b32 s56, s6
	s_mov_b32 s57, s13
	v_pk_add_f32 v[76:77], v[92:93], v[76:77]
	v_pk_fma_f32 v[92:93], v[56:57], s[54:55], v[82:83] neg_lo:[1,0,0] neg_hi:[1,0,0]
	v_mov_b32_e32 v60, v61
	v_pk_add_f32 v[54:55], v[86:87], v[54:55]
	v_mov_b32_e32 v86, v50
	v_mov_b32_e32 v87, v50
	v_pk_mul_f32 v[90:91], v[90:91], s[56:57]
	s_mov_b32 s31, s21
	s_mov_b32 s56, s13
	;; [unrolled: 1-line block ×3, first 2 shown]
	v_pk_add_f32 v[76:77], v[92:93], v[76:77]
	v_pk_fma_f32 v[92:93], v[62:63], s[44:45], v[106:107] neg_lo:[1,0,0] neg_hi:[1,0,0]
	ds_write2_b32 v73, v54, v55 offset1:1
	v_mov_b32_e32 v54, v39
	v_mov_b32_e32 v55, v39
	v_pk_mul_f32 v[86:87], v[86:87], s[56:57]
	s_mov_b32 s56, s21
	s_mov_b32 s57, s28
	v_pk_add_f32 v[76:77], v[92:93], v[76:77]
	v_pk_fma_f32 v[92:93], v[60:61], s[30:31], v[90:91] neg_lo:[1,0,0] neg_hi:[1,0,0]
	v_mov_b32_e32 v88, v37
	v_mov_b32_e32 v89, v37
	v_pk_add_f32 v[76:77], v[92:93], v[76:77]
	v_pk_fma_f32 v[92:93], v[54:55], s[56:57], v[86:87] neg_lo:[1,0,0] neg_hi:[1,0,0]
	v_mul_f32_e32 v10, 0xbe3c28d5, v53
	v_pk_add_f32 v[76:77], v[92:93], v[76:77]
	v_pk_fma_f32 v[92:93], v[88:89], s[38:39], v[80:81] neg_lo:[1,0,0] neg_hi:[1,0,0]
	v_mul_f32_e32 v18, 0x3eb8f4ab, v23
	v_pk_add_f32 v[76:77], v[92:93], v[76:77]
	ds_write2_b32 v73, v76, v77 offset0:6 offset1:7
	v_pk_add_f32 v[76:77], v[2:3], v[10:11] neg_lo:[0,1] neg_hi:[0,1]
	v_pk_add_f32 v[108:109], v[2:3], v[10:11]
	v_pk_add_f32 v[110:111], v[16:17], v[18:19]
	v_mov_b32_e32 v77, v108
	v_pk_add_f32 v[108:109], v[16:17], v[18:19] neg_lo:[0,1] neg_hi:[0,1]
	v_mul_f32_e32 v24, 0xbf59a7d5, v70
	v_mul_f32_e32 v70, 0xbf06c442, v59
	v_pk_add_f32 v[76:77], v[12:13], v[76:77]
	v_mov_b32_e32 v109, v110
	v_pk_add_f32 v[76:77], v[76:77], v[108:109]
	v_pk_add_f32 v[108:109], v[24:25], v[70:71] neg_lo:[0,1] neg_hi:[0,1]
	v_pk_add_f32 v[70:71], v[24:25], v[70:71]
	v_mul_f32_e32 v68, 0x3f3d2fb0, v68
	v_mul_f32_e32 v84, 0x3f2c7751, v57
	v_mov_b32_e32 v109, v70
	v_pk_add_f32 v[70:71], v[108:109], v[76:77]
	v_pk_add_f32 v[76:77], v[68:69], v[84:85] neg_lo:[0,1] neg_hi:[0,1]
	v_pk_add_f32 v[68:69], v[68:69], v[84:85]
	v_mul_f32_e32 v74, 0xbf1a4643, v74
	v_mul_f32_e32 v78, 0xbf4c4adb, v63
	v_mov_b32_e32 v77, v68
	v_pk_add_f32 v[68:69], v[76:77], v[70:71]
	v_pk_add_f32 v[70:71], v[74:75], v[78:79] neg_lo:[0,1] neg_hi:[0,1]
	v_pk_add_f32 v[74:75], v[74:75], v[78:79]
	v_pk_fma_f32 v[52:53], v[52:53], s[48:49], v[98:99]
	v_mul_f32_e32 v72, 0x3ee437d1, v72
	v_mul_f32_e32 v66, 0x3f65296c, v61
	v_mov_b32_e32 v71, v74
	v_pk_add_f32 v[12:13], v[12:13], v[52:53]
	v_pk_fma_f32 v[52:53], v[104:105], s[50:51], v[100:101]
	v_pk_add_f32 v[68:69], v[70:71], v[68:69]
	v_pk_add_f32 v[70:71], v[72:73], v[66:67] neg_lo:[0,1] neg_hi:[0,1]
	v_pk_add_f32 v[66:67], v[72:73], v[66:67]
	v_pk_add_f32 v[12:13], v[12:13], v[52:53]
	v_pk_fma_f32 v[52:53], v[58:59], s[52:53], v[102:103]
	v_mul_f32_e32 v64, 0xbe8c1d8e, v50
	v_mul_f32_e32 v94, 0xbf763a35, v39
	v_mov_b32_e32 v71, v66
	v_pk_add_f32 v[12:13], v[52:53], v[12:13]
	v_pk_fma_f32 v[52:53], v[56:57], s[54:55], v[82:83]
	v_pk_add_f32 v[66:67], v[70:71], v[68:69]
	v_pk_add_f32 v[68:69], v[64:65], v[94:95] neg_lo:[0,1] neg_hi:[0,1]
	v_pk_add_f32 v[64:65], v[64:65], v[94:95]
	;; [unrolled: 10-line block ×3, first 2 shown]
	v_pk_add_f32 v[12:13], v[52:53], v[12:13]
	v_pk_fma_f32 v[52:53], v[54:55], s[56:57], v[86:87]
	v_mov_b32_e32 v67, v68
	v_pk_add_f32 v[12:13], v[52:53], v[12:13]
	v_pk_fma_f32 v[52:53], v[88:89], s[38:39], v[80:81]
	v_pk_add_f32 v[64:65], v[66:67], v[64:65]
	v_pk_add_f32 v[12:13], v[52:53], v[12:13]
	ds_write2_b32 v73, v64, v65 offset0:8 offset1:9
	v_mov_b32_e32 v2, v13
	ds_write2_b32 v73, v13, v12 offset0:10 offset1:11
	ds_write2_b32 v73, v117, v8 offset0:12 offset1:13
	;; [unrolled: 1-line block ×3, first 2 shown]
	ds_write_b32 v73, v95 offset:64
.LBB0_13:
	s_or_b64 exec, exec, s[46:47]
	v_pk_add_f32 v[12:13], v[26:27], v[46:47]
	v_mov_b32_e32 v52, v43
	v_pk_add_f32 v[12:13], v[12:13], v[44:45]
	v_mov_b32_e32 v53, v49
	v_pk_add_f32 v[12:13], v[12:13], v[48:49]
	v_mov_b32_e32 v54, v31
	v_pk_add_f32 v[12:13], v[12:13], v[42:43]
	v_mov_b32_e32 v55, v33
	v_mov_b32_e32 v43, v48
	v_mov_b32_e32 v48, v30
	;; [unrolled: 1-line block ×3, first 2 shown]
	v_pk_add_f32 v[12:13], v[12:13], v[40:41]
	v_pk_add_f32 v[124:125], v[52:53], v[54:55]
	v_pk_add_f32 v[126:127], v[42:43], v[48:49] neg_lo:[0,1] neg_hi:[0,1]
	v_mov_b32_e32 v48, v15
	v_mov_b32_e32 v49, v41
	v_mov_b32_e32 v52, v21
	v_mov_b32_e32 v53, v29
	v_pk_add_f32 v[114:115], v[48:49], v[52:53]
	v_mov_b32_e32 v48, v14
	v_mov_b32_e32 v12, v13
	v_mov_b32_e32 v13, v47
	v_mov_b32_e32 v14, v15
	v_mov_b32_e32 v15, v1
	v_mov_b32_e32 v47, v45
	v_mov_b32_e32 v2, v0
	v_pk_add_f32 v[120:121], v[12:13], v[14:15]
	v_pk_add_f32 v[56:57], v[46:47], v[2:3] neg_lo:[0,1] neg_hi:[0,1]
	v_pk_add_f32 v[118:119], v[46:47], v[2:3]
	v_mov_b32_e32 v104, v56
	v_mov_b32_e32 v105, v119
	;; [unrolled: 1-line block ×4, first 2 shown]
	s_mov_b32 s15, s27
	s_mov_b32 s18, s23
	v_mov_b32_e32 v49, v40
	v_mov_b32_e32 v40, v20
	;; [unrolled: 1-line block ×3, first 2 shown]
	v_pk_mul_f32 v[110:111], v[106:107], s[14:15]
	v_pk_mul_f32 v[112:113], v[104:105], s[18:19]
	s_mov_b32 s40, s35
	v_pk_add_f32 v[116:117], v[48:49], v[40:41] neg_lo:[0,1] neg_hi:[0,1]
	s_mov_b32 s44, s45
	s_mov_b32 s45, s28
	v_sub_f32_e32 v2, v110, v112
	v_pk_mul_f32 v[128:129], v[126:127], s[40:41]
	v_pk_mul_f32 v[122:123], v[116:117], s[44:45]
	s_mov_b32 s34, s22
	s_mov_b32 s44, s20
	;; [unrolled: 1-line block ×5, first 2 shown]
	v_sub_f32_e32 v0, v113, v111
	v_add_f32_e32 v2, v27, v2
	v_pk_fma_f32 v[42:43], v[124:125], s[12:13], v[128:129] neg_lo:[0,0,1] neg_hi:[0,0,1]
	v_pk_mul_f32 v[84:85], v[56:57], s[44:45] op_sel_hi:[0,1]
	s_mov_b32 s30, s21
	s_mov_b32 s31, s20
	v_pk_mul_f32 v[98:99], v[116:117], s[22:23] op_sel:[1,0]
	s_mov_b32 s22, s9
	s_mov_b32 s23, s6
	v_add_f32_e32 v0, v2, v0
	s_mov_b32 s40, s7
	s_mov_b32 s41, s6
	;; [unrolled: 1-line block ×3, first 2 shown]
	v_pk_mul_f32 v[90:91], v[22:23], s[30:31] op_sel_hi:[0,1]
	s_mov_b32 s26, s35
	s_mov_b32 s30, s29
	;; [unrolled: 1-line block ×3, first 2 shown]
	v_pk_fma_f32 v[52:53], v[120:121], s[22:23], v[84:85] op_sel:[1,0,0] neg_lo:[0,0,1] neg_hi:[0,0,1]
	v_add_f32_e32 v0, v43, v0
	v_pk_fma_f32 v[40:41], v[114:115], s[40:41], v[122:123] neg_lo:[0,0,1] neg_hi:[0,0,1]
	v_pk_fma_f32 v[12:13], v[118:119], s[8:9], v[90:91] op_sel:[1,0,0] neg_lo:[0,0,1] neg_hi:[0,0,1]
	s_mov_b32 s18, s12
	v_pk_mul_f32 v[96:97], v[126:127], s[26:27] op_sel:[1,0]
	v_pk_mul_f32 v[100:101], v[126:127], s[30:31] op_sel_hi:[0,1]
	v_pk_add_f32 v[52:53], v[26:27], v[52:53] op_sel:[1,0]
	v_mov_b32_e32 v76, v51
	v_mov_b32_e32 v77, v38
	s_mov_b32 s30, s9
	s_mov_b32 s31, s20
	v_add_f32_e32 v0, v42, v0
	v_pk_fma_f32 v[14:15], v[124:125], s[18:19], v[96:97] op_sel:[1,0,0] neg_lo:[0,0,1] neg_hi:[0,0,1]
	s_mov_b32 s26, s7
	s_mov_b32 s27, s13
	v_pk_add_f32 v[12:13], v[52:53], v[12:13]
	v_pk_mul_f32 v[82:83], v[76:77], s[30:31]
	v_add_f32_e32 v0, v41, v0
	v_pk_fma_f32 v[44:45], v[124:125], s[26:27], v[100:101] op_sel_hi:[0,1,1] neg_lo:[0,0,1] neg_hi:[0,0,1]
	s_mov_b32 s15, s24
	v_pk_add_f32 v[12:13], v[14:15], v[12:13]
	v_add_f32_e32 v0, v40, v0
	v_sub_f32_e32 v2, v82, v83
	s_mov_b32 s25, s12
	v_pk_mul_f32 v[80:81], v[116:117], s[34:35] op_sel_hi:[0,1]
	v_pk_fma_f32 v[46:47], v[114:115], s[14:15], v[98:99] op_sel:[1,0,0] neg_lo:[0,0,1] neg_hi:[0,0,1]
	v_pk_add_f32 v[12:13], v[44:45], v[12:13]
	v_add_f32_e32 v0, v2, v0
	s_mov_b32 s43, s38
	v_mul_f32_e32 v2, 0xbf06c442, v36
	v_pk_fma_f32 v[48:49], v[114:115], s[24:25], v[80:81] op_sel_hi:[0,1,1] neg_lo:[0,0,1] neg_hi:[0,0,1]
	v_pk_add_f32 v[14:15], v[46:47], v[12:13]
	s_mov_b32 s30, s19
	s_mov_b32 s31, s14
	v_pk_mul_f32 v[94:95], v[38:39], s[42:43] op_sel_hi:[0,1]
	v_fma_f32 v10, v35, s24, -v2
	v_lshl_add_u32 v131, v130, 2, 0
	v_add_f32_e32 v13, v10, v0
	v_pk_add_f32 v[14:15], v[48:49], v[14:15]
	v_pk_fma_f32 v[40:41], v[50:51], s[30:31], v[94:95] op_sel:[1,0,0] neg_lo:[0,0,1] neg_hi:[0,0,1]
	v_add_u32_e32 v10, 0x400, v131
	v_add_u32_e32 v12, 0x800, v131
	;; [unrolled: 1-line block ×5, first 2 shown]
	v_pk_add_f32 v[14:15], v[40:41], v[14:15]
	s_waitcnt lgkmcnt(0)
	s_barrier
	ds_read2_b32 v[40:41], v131 offset1:136
	ds_read2_b32 v[52:53], v10 offset0:16 offset1:152
	ds_read2_b32 v[46:47], v12 offset0:32 offset1:168
	;; [unrolled: 1-line block ×5, first 2 shown]
	ds_read_b32 v55, v131 offset:6528
	v_pk_mul_f32 v[72:73], v[36:37], s[28:29] op_sel_hi:[0,1]
	v_pk_fma_f32 v[58:59], v[34:35], s[6:7], v[72:73] op_sel:[1,0,0] neg_lo:[0,0,1] neg_hi:[0,0,1]
	s_waitcnt lgkmcnt(0)
	v_pk_add_f32 v[14:15], v[58:59], v[14:15]
	s_barrier
	s_and_saveexec_b64 s[20:21], s[0:1]
	s_cbranch_execz .LBB0_15
; %bb.14:
	v_mov_b32_e32 v150, v125
	v_mov_b32_e32 v151, v127
	s_mov_b32 s1, 0xbf65296c
	s_mov_b32 s0, 0x3ee437d1
	v_pk_mul_f32 v[138:139], v[118:119], s[8:9] op_sel:[1,0]
	v_pk_mul_f32 v[152:153], v[150:151], s[0:1]
	s_mov_b32 s8, 0x3f2c7751
	v_pk_mul_f32 v[132:133], v[124:125], s[12:13]
	v_pk_mul_f32 v[140:141], v[124:125], s[18:19] op_sel:[1,0]
	v_mov_b32_e32 v155, v152
	s_mov_b32 s12, 0x3f3d2fb0
	s_mov_b32 s9, 0xbf06c442
	;; [unrolled: 1-line block ×4, first 2 shown]
	v_mov_b32_e32 v92, v127
	v_mov_b32_e32 v93, v127
	;; [unrolled: 1-line block ×4, first 2 shown]
	v_pk_mul_f32 v[144:145], v[114:115], s[14:15] op_sel:[1,0]
	v_pk_mul_f32 v[102:103], v[34:35], s[6:7] op_sel:[1,0]
	v_pk_fma_f32 v[150:151], v[150:151], s[0:1], v[154:155]
	v_sub_f32_e32 v54, v152, v153
	s_mov_b32 s13, 0xbf59a7d5
	v_pk_mul_f32 v[152:153], v[126:127], s[8:9]
	v_mov_b32_e32 v154, v124
	v_mov_b32_e32 v155, v126
	s_mov_b32 s7, 0xbf7ee86f
	s_mov_b32 s6, 0x3dbcf732
	;; [unrolled: 1-line block ×4, first 2 shown]
	v_pk_mul_f32 v[126:127], v[126:127], s[18:19]
	v_pk_mul_f32 v[156:157], v[154:155], s[6:7]
	v_pk_add_f32 v[128:129], v[132:133], v[128:129]
	v_pk_fma_f32 v[132:133], v[124:125], s[14:15], v[126:127] neg_lo:[0,0,1] neg_hi:[0,0,1]
	v_pk_fma_f32 v[126:127], v[124:125], s[14:15], v[126:127]
	s_mov_b32 s14, 0xbe8c1d8e
	v_mov_b32_e32 v64, v125
	v_mov_b32_e32 v65, v125
	v_mov_b32_e32 v66, v124
	v_mov_b32_e32 v67, v124
	v_pk_mul_f32 v[142:143], v[124:125], s[26:27] op_sel_hi:[0,1]
	v_mov_b32_e32 v159, v156
	v_sub_f32_e32 v108, v156, v157
	v_pk_fma_f32 v[156:157], v[124:125], s[12:13], v[152:153]
	v_pk_fma_f32 v[124:125], v[124:125], s[12:13], v[152:153] neg_lo:[0,0,1] neg_hi:[0,0,1]
	v_mov_b32_e32 v152, v115
	v_mov_b32_e32 v153, v117
	s_mov_b32 s15, 0xbf763a35
	v_pk_fma_f32 v[154:155], v[154:155], s[6:7], v[158:159]
	v_pk_mul_f32 v[158:159], v[152:153], s[14:15]
	s_mov_b32 s1, 0xbf1a4643
	v_mov_b32_e32 v161, v158
	s_mov_b32 s19, 0xbf4c4adb
	v_pk_mul_f32 v[146:147], v[120:121], s[22:23] op_sel:[1,0]
	v_pk_fma_f32 v[152:153], v[152:153], s[14:15], v[160:161]
	v_mov_b32_e32 v160, v114
	v_mov_b32_e32 v161, v116
	s_mov_b32 s22, s1
	s_mov_b32 s23, s19
	v_pk_mul_f32 v[162:163], v[160:161], s[22:23]
	v_pk_mul_f32 v[136:137], v[114:115], s[24:25] op_sel_hi:[0,1]
	s_mov_b32 s18, 0x3f65296c
	v_mov_b32_e32 v165, v162
	s_mov_b32 s25, 0xbe3c28d5
	s_mov_b32 s24, 0x3f7ee86f
	v_pk_mul_f32 v[134:135], v[114:115], s[40:41]
	v_mov_b32_e32 v78, v116
	v_mov_b32_e32 v79, v116
	;; [unrolled: 1-line block ×4, first 2 shown]
	v_sub_f32_e32 v166, v158, v159
	v_pk_mul_f32 v[158:159], v[116:117], s[18:19]
	v_pk_fma_f32 v[160:161], v[160:161], s[22:23], v[164:165]
	s_mov_b32 s23, 0xbf7ba420
	s_mov_b32 s22, s6
	v_pk_mul_f32 v[116:117], v[116:117], s[24:25]
	v_mov_b32_e32 v58, v114
	v_mov_b32_e32 v59, v114
	;; [unrolled: 1-line block ×4, first 2 shown]
	v_sub_f32_e32 v167, v162, v163
	v_pk_add_f32 v[122:123], v[134:135], v[122:123]
	v_pk_fma_f32 v[134:135], v[114:115], s[22:23], v[116:117] neg_lo:[0,0,1] neg_hi:[0,0,1]
	v_pk_fma_f32 v[116:117], v[114:115], s[22:23], v[116:117]
	v_pk_fma_f32 v[162:163], v[114:115], s[0:1], v[158:159]
	v_pk_fma_f32 v[114:115], v[114:115], s[0:1], v[158:159] neg_lo:[0,0,1] neg_hi:[0,0,1]
	v_mov_b32_e32 v159, 0x3f6eb680
	v_mov_b32_e32 v158, v25
	;; [unrolled: 1-line block ×5, first 2 shown]
	s_mov_b32 s29, 0xbf2c7751
	s_mov_b32 s28, s12
	v_mov_b32_e32 v60, v121
	v_mov_b32_e32 v61, v121
	;; [unrolled: 1-line block ×4, first 2 shown]
	v_pk_add_f32 v[164:165], v[120:121], v[158:159]
	v_pk_mul_f32 v[120:121], v[120:121], v[158:159]
	v_pk_mul_f32 v[118:119], v[32:33], s[28:29]
	v_mov_b32_e32 v165, v121
	v_mov_b32_e32 v150, v21
	;; [unrolled: 1-line block ×3, first 2 shown]
	v_mul_f32_e32 v31, 0xbeb8f4ab, v56
	v_mov_b32_e32 v21, v118
	s_mov_b32 s35, 0x3eb8f4ab
	s_mov_b32 s34, s23
	v_mov_b32_e32 v30, v17
	s_mov_b32 s27, 0x3f6eb680
	v_pk_fma_f32 v[32:33], v[32:33], s[28:29], v[20:21]
	s_mov_b32 s26, s25
	v_pk_mul_f32 v[158:159], v[106:107], s[34:35]
	v_pk_add_f32 v[16:17], v[164:165], v[30:31]
	s_mov_b32 s35, 0x3f06c442
	s_mov_b32 s34, s14
	v_sub_f32_e32 v21, v118, v119
	v_pk_mul_f32 v[118:119], v[104:105], s[26:27]
	v_pk_add_f32 v[16:17], v[16:17], v[26:27]
	v_mov_b32_e32 v32, v19
	v_fmac_f32_e32 v121, 0x3eb8f4ab, v56
	v_pk_mul_f32 v[30:31], v[106:107], s[34:35]
	s_mov_b32 s34, s15
	s_mov_b32 s35, s13
	v_mov_b32_e32 v0, v27
	v_pk_add_f32 v[16:17], v[16:17], v[32:33]
	v_add_f32_e32 v25, v27, v121
	v_pk_mul_f32 v[32:33], v[104:105], s[34:35]
	v_pk_fma_f32 v[106:107], v[104:105], s[34:35], v[30:31]
	v_pk_fma_f32 v[104:105], v[104:105], s[26:27], v[158:159]
	v_mov_b32_e32 v120, v158
	v_mov_b32_e32 v121, v119
	;; [unrolled: 1-line block ×3, first 2 shown]
	v_pk_add_f32 v[18:19], v[112:113], v[110:111]
	v_pk_add_f32 v[112:113], v[0:1], v[104:105]
	v_pk_add_f32 v[118:119], v[120:121], v[118:119] neg_lo:[0,1] neg_hi:[0,1]
	v_mov_b32_e32 v34, v105
	v_mov_b32_e32 v74, v27
	;; [unrolled: 1-line block ×3, first 2 shown]
	v_pk_add_f32 v[26:27], v[0:1], v[18:19]
	v_pk_add_f32 v[120:121], v[0:1], v[118:119]
	v_mov_b32_e32 v18, v19
	v_pk_add_f32 v[104:105], v[112:113], v[34:35]
	v_mov_b32_e32 v34, v119
	v_pk_add_f32 v[110:111], v[0:1], v[106:107]
	v_pk_add_f32 v[18:19], v[26:27], v[18:19]
	v_mov_b32_e32 v26, v107
	v_pk_add_f32 v[106:107], v[120:121], v[34:35]
	v_mov_b32_e32 v34, v129
	v_pk_add_f32 v[26:27], v[110:111], v[26:27]
	v_pk_add_f32 v[18:19], v[34:35], v[18:19]
	v_mov_b32_e32 v34, v127
	v_mov_b32_e32 v110, v143
	;; [unrolled: 1-line block ×7, first 2 shown]
	v_pk_add_f32 v[26:27], v[34:35], v[26:27]
	v_mov_b32_e32 v34, v157
	v_pk_add_f32 v[110:111], v[110:111], v[112:113]
	v_pk_add_f32 v[96:97], v[142:143], v[100:101]
	v_mov_b32_e32 v100, v137
	v_mov_b32_e32 v101, v145
	;; [unrolled: 1-line block ×4, first 2 shown]
	v_pk_add_f32 v[104:105], v[34:35], v[104:105]
	v_mov_b32_e32 v34, v125
	v_pk_add_f32 v[100:101], v[100:101], v[112:113]
	v_mov_b32_e32 v81, v98
	v_mov_b32_e32 v98, v147
	;; [unrolled: 1-line block ×5, first 2 shown]
	v_pk_add_f32 v[106:107], v[34:35], v[106:107]
	v_pk_add_f32 v[18:19], v[128:129], v[18:19]
	v_mov_b32_e32 v34, v123
	v_pk_add_f32 v[98:99], v[98:99], v[112:113]
	v_mov_b32_e32 v147, v138
	v_mov_b32_e32 v85, v90
	v_pk_add_f32 v[18:19], v[34:35], v[18:19]
	v_pk_add_f32 v[112:113], v[0:1], v[98:99]
	v_pk_add_f32 v[84:85], v[146:147], v[84:85]
	v_mov_b32_e32 v34, v99
	v_pk_add_f32 v[90:91], v[0:1], v[84:85]
	v_pk_add_f32 v[98:99], v[112:113], v[34:35]
	v_mov_b32_e32 v34, v85
	v_pk_add_f32 v[84:85], v[90:91], v[34:35]
	v_mov_b32_e32 v34, v111
	v_mov_b32_e32 v137, v144
	v_pk_add_f32 v[90:91], v[34:35], v[98:99]
	v_mov_b32_e32 v34, v97
	v_pk_add_f32 v[80:81], v[136:137], v[80:81]
	v_pk_add_f32 v[84:85], v[34:35], v[84:85]
	;; [unrolled: 1-line block ×3, first 2 shown]
	v_mov_b32_e32 v34, v101
	v_pk_add_f32 v[84:85], v[96:97], v[84:85]
	v_pk_add_f32 v[90:91], v[34:35], v[90:91]
	v_mov_b32_e32 v34, v81
	v_pk_add_f32 v[26:27], v[126:127], v[26:27]
	v_pk_add_f32 v[84:85], v[34:35], v[84:85]
	;; [unrolled: 3-line block ×4, first 2 shown]
	v_mov_b32_e32 v34, v115
	v_add_f32_e32 v21, v25, v21
	v_pk_add_f32 v[98:99], v[34:35], v[106:107]
	s_mov_b32 s34, s13
	s_mov_b32 s35, s9
	v_add_f32_e32 v21, v54, v21
	v_pk_add_f32 v[18:19], v[122:123], v[18:19]
	v_pk_add_f32 v[80:81], v[80:81], v[84:85]
	;; [unrolled: 1-line block ×4, first 2 shown]
	v_pk_mul_f32 v[98:99], v[76:77], s[34:35]
	v_add_f32_e32 v21, v108, v21
	v_mov_b32_e32 v19, v98
	v_mov_b32_e32 v154, v29
	v_pk_add_f32 v[16:17], v[16:17], v[150:151]
	v_add_f32_e32 v21, v166, v21
	v_pk_add_f32 v[90:91], v[100:101], v[90:91]
	v_pk_fma_f32 v[100:101], v[76:77], s[34:35], v[18:19]
	v_pk_mul_f32 v[148:149], v[50:51], s[30:31] op_sel:[1,0]
	s_mov_b32 s31, 0xbeb8f4ab
	v_pk_add_f32 v[16:17], v[16:17], v[154:155]
	v_add_f32_e32 v21, v167, v21
	v_mov_b32_e32 v100, v3
	v_sub_f32_e32 v3, v98, v99
	s_mov_b32 s30, s27
	v_pk_add_f32 v[16:17], v[16:17], v[152:153]
	v_add_f32_e32 v19, v3, v21
	v_mov_b32_e32 v3, v82
	v_pk_mul_f32 v[98:99], v[76:77], s[30:31]
	v_pk_add_f32 v[16:17], v[16:17], v[160:161]
	v_pk_add_f32 v[82:83], v[2:3], v[82:83]
	v_mov_b32_e32 v3, v98
	v_sub_f32_e32 v21, v30, v32
	v_pk_add_f32 v[16:17], v[16:17], v[100:101]
	v_pk_fma_f32 v[100:101], v[76:77], s[30:31], v[2:3]
	v_sub_f32_e32 v3, v33, v31
	v_add_f32_e32 v0, v0, v21
	v_add_f32_e32 v0, v0, v3
	;; [unrolled: 1-line block ×6, first 2 shown]
	v_sub_f32_e32 v3, v98, v99
	v_pk_mul_f32 v[30:31], v[76:77], s[14:15]
	v_add_f32_e32 v21, v3, v0
	v_mov_b32_e32 v0, v31
	v_mov_b32_e32 v3, v30
	v_pk_fma_f32 v[32:33], v[76:77], s[14:15], v[0:1]
	v_pk_fma_f32 v[30:31], v[76:77], s[14:15], v[2:3] neg_lo:[1,0,0] neg_hi:[1,0,0]
	v_mov_b32_e32 v76, v35
	v_mov_b32_e32 v77, v36
	s_mov_b32 s34, s23
	s_mov_b32 s35, s25
	v_pk_mul_f32 v[98:99], v[76:77], s[34:35]
	v_pk_add_f32 v[94:95], v[148:149], v[94:95]
	v_mov_b32_e32 v3, v98
	v_pk_fma_f32 v[76:77], v[76:77], s[34:35], v[2:3]
	v_mul_f32_e32 v109, 0xbf59a7d5, v35
	v_mov_b32_e32 v76, v1
	v_pk_add_f32 v[26:27], v[116:117], v[26:27]
	v_pk_add_f32 v[0:1], v[76:77], v[16:17]
	v_sub_f32_e32 v3, v98, v99
	v_mov_b32_e32 v108, v95
	v_mov_b32_e32 v91, v2
	;; [unrolled: 1-line block ×5, first 2 shown]
	v_add_f32_e32 v25, v3, v19
	v_pk_add_f32 v[2:3], v[108:109], v[90:91]
	v_pk_add_f32 v[16:17], v[82:83], v[16:17]
	v_mul_f32_e32 v95, 0xbf1a4643, v35
	v_mul_f32_e32 v81, 0xbf4c4adb, v36
	v_mov_b32_e32 v103, v101
	v_mov_b32_e32 v73, v26
	v_pk_add_f32 v[2:3], v[2:3], v[16:17]
	v_pk_add_f32 v[16:17], v[102:103], v[72:73]
	;; [unrolled: 1-line block ×3, first 2 shown]
	v_mov_b32_e32 v57, v56
	v_mov_b32_e32 v23, v22
	v_pk_add_f32 v[16:17], v[18:19], v[16:17]
	v_fma_f32 v18, v35, s1, -v81
	s_mov_b32 s34, s19
	s_mov_b32 s35, s9
	;; [unrolled: 1-line block ×4, first 2 shown]
	v_add_f32_e32 v21, v18, v21
	v_pk_mul_f32 v[18:19], v[56:57], s[34:35]
	v_pk_mul_f32 v[22:23], v[22:23], s[36:37]
	s_mov_b32 s36, s27
	s_mov_b32 s39, s7
	;; [unrolled: 1-line block ×8, first 2 shown]
	v_pk_fma_f32 v[90:91], v[60:61], s[26:27], v[18:19]
	v_pk_fma_f32 v[26:27], v[62:63], s[34:35], v[22:23]
	s_mov_b32 s37, s6
	v_pk_mul_f32 v[56:57], v[92:93], s[38:39]
	s_mov_b32 s41, 0x3f4c4adb
	s_mov_b32 s40, s9
	v_pk_add_f32 v[90:91], v[74:75], v[90:91]
	v_pk_fma_f32 v[18:19], v[60:61], s[26:27], v[18:19] neg_lo:[0,0,1] neg_hi:[0,0,1]
	v_pk_fma_f32 v[72:73], v[64:65], s[36:37], v[56:57]
	s_mov_b32 s38, s13
	s_mov_b32 s39, s1
	v_pk_mul_f32 v[76:77], v[88:89], s[40:41]
	s_mov_b32 s30, s24
	v_pk_add_f32 v[26:27], v[90:91], v[26:27]
	v_pk_fma_f32 v[22:23], v[62:63], s[34:35], v[22:23] neg_lo:[0,0,1] neg_hi:[0,0,1]
	v_pk_add_f32 v[18:19], v[74:75], v[18:19]
	v_pk_fma_f32 v[80:81], v[66:67], s[38:39], v[76:77]
	v_pk_mul_f32 v[82:83], v[86:87], s[30:31]
	s_mov_b32 s24, s29
	v_pk_add_f32 v[26:27], v[72:73], v[26:27]
	v_pk_fma_f32 v[56:57], v[64:65], s[36:37], v[56:57] neg_lo:[0,0,1] neg_hi:[0,0,1]
	v_pk_add_f32 v[18:19], v[18:19], v[22:23]
	v_mov_b32_e32 v39, v38
	v_pk_fma_f32 v[86:87], v[70:71], s[6:7], v[82:83]
	s_mov_b32 s22, s12
	v_pk_mul_f32 v[78:79], v[78:79], s[24:25]
	v_pk_add_f32 v[26:27], v[80:81], v[26:27]
	s_mov_b32 s29, s12
	s_mov_b32 s12, s25
	;; [unrolled: 1-line block ×3, first 2 shown]
	v_pk_fma_f32 v[62:63], v[66:67], s[38:39], v[76:77] neg_lo:[0,0,1] neg_hi:[0,0,1]
	v_pk_add_f32 v[18:19], v[56:57], v[18:19]
	v_mov_b32_e32 v68, v51
	v_mov_b32_e32 v69, v51
	v_pk_fma_f32 v[88:89], v[58:59], s[22:23], v[78:79]
	v_pk_add_f32 v[26:27], v[86:87], v[26:27]
	s_mov_b32 s28, s23
	v_pk_mul_f32 v[38:39], v[38:39], s[12:13]
	v_pk_fma_f32 v[64:65], v[70:71], s[6:7], v[82:83] neg_lo:[0,0,1] neg_hi:[0,0,1]
	v_pk_add_f32 v[18:19], v[62:63], v[18:19]
	v_mov_b32_e32 v37, v36
	v_pk_add_f32 v[26:27], v[88:89], v[26:27]
	v_pk_fma_f32 v[72:73], v[68:69], s[28:29], v[38:39]
	s_mov_b32 s19, s15
	v_pk_fma_f32 v[58:59], v[58:59], s[22:23], v[78:79] neg_lo:[0,0,1] neg_hi:[0,0,1]
	v_pk_add_f32 v[18:19], v[64:65], v[18:19]
	v_mov_b32_e32 v50, v35
	v_mov_b32_e32 v51, v35
	v_pk_add_f32 v[26:27], v[72:73], v[26:27]
	s_mov_b32 s1, s14
	v_pk_mul_f32 v[72:73], v[36:37], s[18:19]
	v_pk_add_f32 v[18:19], v[58:59], v[18:19]
	v_pk_fma_f32 v[22:23], v[68:69], s[28:29], v[38:39] neg_lo:[0,0,1] neg_hi:[0,0,1]
	v_mul_f32_e32 v30, 0x3f7ee86f, v36
	v_pk_add_f32 v[18:19], v[22:23], v[18:19]
	v_pk_fma_f32 v[22:23], v[50:51], s[0:1], v[72:73] neg_lo:[0,0,1] neg_hi:[0,0,1]
	v_mov_b32_e32 v36, v84
	v_pk_add_f32 v[18:19], v[22:23], v[18:19]
	v_mul_f32_e32 v22, 0x3dbcf732, v35
	v_mov_b32_e32 v23, v96
	v_pk_add_f32 v[34:35], v[22:23], v[30:31]
	v_mov_b32_e32 v37, v22
	v_mov_b32_e32 v22, v32
	;; [unrolled: 1-line block ×3, first 2 shown]
	v_pk_add_f32 v[30:31], v[84:85], v[32:33]
	v_pk_add_f32 v[22:23], v[36:37], v[22:23] neg_lo:[0,1] neg_hi:[0,1]
	v_pk_fma_f32 v[80:81], v[50:51], s[0:1], v[72:73]
	v_mov_b32_e32 v31, v23
	v_lshl_add_u32 v29, v130, 6, v131
	v_pk_add_f32 v[26:27], v[80:81], v[26:27]
	v_pk_add_f32 v[22:23], v[34:35], v[30:31]
	ds_write2_b32 v29, v0, v1 offset1:1
	ds_write2_b32 v29, v2, v3 offset0:2 offset1:3
	ds_write2_b32 v29, v16, v17 offset0:4 offset1:5
	;; [unrolled: 1-line block ×7, first 2 shown]
	ds_write_b32 v29, v25 offset:64
.LBB0_15:
	s_or_b64 exec, exec, s[20:21]
	s_movk_i32 s0, 0xf1
	v_mul_lo_u16_sdwa v0, v130, s0 dst_sel:DWORD dst_unused:UNUSED_PAD src0_sel:BYTE_0 src1_sel:DWORD
	v_lshrrev_b16_e32 v88, 12, v0
	v_mul_lo_u16_e32 v0, 17, v88
	v_sub_u16_e32 v89, v130, v0
	v_mov_b32_e32 v0, 12
	v_mul_u32_u24_sdwa v0, v89, v0 dst_sel:DWORD dst_unused:UNUSED_PAD src0_sel:BYTE_0 src1_sel:DWORD
	v_lshlrev_b32_e32 v21, 3, v0
	s_load_dwordx2 s[6:7], s[2:3], 0x0
	s_waitcnt lgkmcnt(0)
	s_barrier
	global_load_dwordx4 v[0:3], v21, s[4:5] offset:48
	global_load_dwordx4 v[56:59], v21, s[4:5] offset:64
	global_load_dwordx4 v[36:39], v21, s[4:5] offset:80
	global_load_dwordx4 v[30:33], v21, s[4:5]
	global_load_dwordx4 v[60:63], v21, s[4:5] offset:16
	ds_read2_b32 v[16:17], v131 offset1:136
	ds_read2_b32 v[26:27], v10 offset0:16 offset1:152
	ds_read2_b32 v[18:19], v12 offset0:32 offset1:168
	;; [unrolled: 1-line block ×5, first 2 shown]
	ds_read_b32 v67, v131 offset:6528
	global_load_dwordx4 v[20:23], v21, s[4:5] offset:32
	v_mov_b32_e32 v34, v52
	v_mov_b32_e32 v35, v41
	s_waitcnt lgkmcnt(5)
	v_mov_b32_e32 v50, v26
	v_mov_b32_e32 v51, v17
	s_waitcnt lgkmcnt(1)
	v_mov_b32_e32 v66, v29
	v_mov_b32_e32 v54, v49
	;; [unrolled: 1-line block ×4, first 2 shown]
	s_mov_b32 s0, 0x3f116cb1
	s_mov_b32 s3, 0xbeedf032
	;; [unrolled: 1-line block ×5, first 2 shown]
	v_mov_b32_e32 v71, v28
	v_mov_b32_e32 v70, v25
	;; [unrolled: 1-line block ×4, first 2 shown]
	s_mov_b32 s18, 0xbf6f5d39
	s_mov_b32 s14, 0xbeb58ec6
	;; [unrolled: 1-line block ×19, first 2 shown]
	s_waitcnt lgkmcnt(0)
	s_barrier
	s_waitcnt vmcnt(5)
	v_mov_b32_e32 v73, v2
	s_waitcnt vmcnt(4)
	v_mov_b32_e32 v74, v57
	;; [unrolled: 2-line block ×4, first 2 shown]
	v_mov_b32_e32 v30, v33
	v_mov_b32_e32 v33, v38
	;; [unrolled: 1-line block ×5, first 2 shown]
	s_waitcnt vmcnt(1)
	v_mov_b32_e32 v81, v60
	v_mov_b32_e32 v60, v63
	v_pk_mul_f32 v[82:83], v[50:51], v[30:31]
	v_pk_mul_f32 v[30:31], v[34:35], v[30:31]
	;; [unrolled: 1-line block ×3, first 2 shown]
	v_mov_b32_e32 v76, v37
	v_mov_b32_e32 v37, v39
	;; [unrolled: 1-line block ×3, first 2 shown]
	v_pk_mul_f32 v[86:87], v[26:27], v[60:61]
	v_pk_mul_f32 v[60:61], v[52:53], v[60:61]
	v_pk_fma_f32 v[38:39], v[50:51], v[78:79], v[30:31]
	v_pk_fma_f32 v[50:51], v[54:55], v[32:33], v[84:85] neg_lo:[0,0,1] neg_hi:[0,0,1]
	v_mov_b32_e32 v54, v29
	v_mov_b32_e32 v66, v49
	v_pk_fma_f32 v[32:33], v[26:27], v[80:81], v[60:61]
	v_pk_mul_f32 v[26:27], v[54:55], v[36:37]
	v_pk_fma_f32 v[34:35], v[34:35], v[78:79], v[82:83] neg_lo:[0,0,1] neg_hi:[0,0,1]
	v_pk_fma_f32 v[26:27], v[66:67], v[76:77], v[26:27]
	v_pk_add_f32 v[54:55], v[34:35], v[50:51]
	v_pk_add_f32 v[60:61], v[38:39], v[26:27] neg_lo:[0,1] neg_hi:[0,1]
	v_pk_fma_f32 v[30:31], v[52:53], v[80:81], v[86:87] neg_lo:[0,0,1] neg_hi:[0,0,1]
	v_mul_f32_e32 v12, 0xbe750f2a, v61
	v_pk_mul_f32 v[36:37], v[60:61], s[2:3]
	v_mul_f32_e32 v17, 0x3eedf032, v60
	v_fma_f32 v18, v55, s13, -v12
	v_pk_fma_f32 v[52:53], v[54:55], s[0:1], v[36:37] neg_lo:[0,0,1] neg_hi:[0,0,1]
	v_fma_f32 v29, v54, s1, -v17
	v_add_f32_e32 v18, v40, v18
	v_mov_b32_e32 v75, v58
	v_mov_b32_e32 v63, v58
	v_pk_fma_f32 v[36:37], v[54:55], s[0:1], v[36:37]
	v_add_f32_e32 v41, v40, v53
	v_add_f32_e32 v18, v29, v18
	v_mov_b32_e32 v58, v57
	v_mov_b32_e32 v53, v28
	;; [unrolled: 1-line block ×5, first 2 shown]
	v_add_f32_e32 v37, v40, v37
	v_add_f32_e32 v41, v52, v41
	v_mov_b32_e32 v52, v45
	v_pk_mul_f32 v[28:29], v[28:29], v[56:57]
	v_mov_b32_e32 v62, v56
	v_add_f32_e32 v46, v36, v37
	v_pk_mul_f32 v[36:37], v[70:71], v[58:59]
	v_pk_fma_f32 v[28:29], v[52:53], v[74:75], v[28:29]
	v_pk_fma_f32 v[36:37], v[68:69], v[62:63], v[36:37] neg_lo:[0,0,1] neg_hi:[0,0,1]
	v_pk_add_f32 v[58:59], v[32:33], v[28:29] neg_lo:[0,1] neg_hi:[0,1]
	v_fmac_f32_e32 v12, 0xbf788fa5, v55
	v_pk_add_f32 v[56:57], v[30:31], v[36:37]
	v_pk_mul_f32 v[48:49], v[58:59], s[18:19]
	v_pk_mul_f32 v[62:63], v[60:61], s[20:21] op_sel:[1,0]
	v_fmac_f32_e32 v17, 0x3f62ad3f, v54
	v_add_f32_e32 v12, v40, v12
	v_pk_fma_f32 v[52:53], v[56:57], s[14:15], v[48:49] neg_lo:[0,0,1] neg_hi:[0,0,1]
	v_pk_fma_f32 v[66:67], v[54:55], s[22:23], v[62:63] op_sel:[1,0,0] neg_lo:[0,0,1] neg_hi:[0,0,1]
	v_add_f32_e32 v12, v17, v12
	v_add_f32_e32 v17, v53, v41
	v_pk_fma_f32 v[48:49], v[56:57], s[14:15], v[48:49]
	v_add_f32_e32 v41, v40, v67
	v_add_f32_e32 v45, v40, v66
	v_pk_fma_f32 v[62:63], v[54:55], s[22:23], v[62:63] op_sel:[1,0,0]
	s_mov_b32 s20, 0xbf3f9e67
	s_mov_b32 s21, s14
	v_pk_mul_f32 v[66:67], v[60:61], s[24:25] op_sel_hi:[0,1]
	v_add_f32_e32 v25, v49, v46
	v_pk_add_f32 v[62:63], v[40:41], v[62:63] op_sel_hi:[0,1]
	v_pk_fma_f32 v[68:69], v[54:55], s[20:21], v[66:67] op_sel_hi:[0,1,1] neg_lo:[0,0,1] neg_hi:[0,0,1]
	v_pk_fma_f32 v[66:67], v[54:55], s[20:21], v[66:67] op_sel_hi:[0,1,1]
	v_mul_f32_e32 v46, 0xbf29c268, v59
	v_pk_add_f32 v[62:63], v[66:67], v[62:63]
	v_pk_mul_f32 v[66:67], v[58:59], s[8:9] op_sel:[1,0]
	v_fma_f32 v49, v57, s20, -v46
	v_fmac_f32_e32 v46, 0xbf3f9e67, v57
	v_add_f32_e32 v41, v69, v41
	v_add_f32_e32 v45, v68, v45
	v_pk_fma_f32 v[68:69], v[56:57], s[12:13], v[66:67] op_sel:[1,0,0] neg_lo:[0,0,1] neg_hi:[0,0,1]
	v_pk_fma_f32 v[66:67], v[56:57], s[12:13], v[66:67] op_sel:[1,0,0]
	v_add_f32_e32 v18, v49, v18
	v_add_f32_e32 v12, v46, v12
	;; [unrolled: 1-line block ×3, first 2 shown]
	s_mov_b32 s27, s20
	v_pk_mul_f32 v[48:49], v[58:59], s[28:29] op_sel_hi:[0,1]
	v_mul_f32_e32 v46, 0x3f52af12, v58
	v_add_f32_e32 v41, v69, v41
	v_pk_add_f32 v[62:63], v[66:67], v[62:63]
	v_add_f32_e32 v17, v52, v17
	v_pk_fma_f32 v[52:53], v[56:57], s[26:27], v[48:49] op_sel_hi:[0,1,1] neg_lo:[0,0,1] neg_hi:[0,0,1]
	v_pk_fma_f32 v[66:67], v[56:57], s[26:27], v[48:49] op_sel_hi:[0,1,1]
	v_fma_f32 v48, v56, s0, -v46
	v_fmac_f32_e32 v46, 0x3f116cb1, v56
	v_add_f32_e32 v45, v68, v45
	v_add_f32_e32 v41, v53, v41
	;; [unrolled: 1-line block ×4, first 2 shown]
	v_mov_b32_e32 v46, v42
	s_waitcnt vmcnt(0)
	v_mov_b32_e32 v53, v20
	v_mov_b32_e32 v18, v64
	v_mov_b32_e32 v20, v23
	v_add_f32_e32 v45, v52, v45
	v_mov_b32_e32 v52, v22
	v_pk_mul_f32 v[22:23], v[18:19], v[20:21]
	v_pk_mul_f32 v[20:21], v[46:47], v[20:21]
	v_add_f32_e32 v10, v40, v35
	v_pk_fma_f32 v[48:49], v[46:47], v[52:53], v[22:23] neg_lo:[0,0,1] neg_hi:[0,0,1]
	v_pk_fma_f32 v[46:47], v[18:19], v[52:53], v[20:21]
	v_mov_b32_e32 v21, v2
	v_mov_b32_e32 v22, v65
	;; [unrolled: 1-line block ×4, first 2 shown]
	v_add_f32_e32 v10, v10, v34
	v_mov_b32_e32 v18, v43
	v_mov_b32_e32 v19, v44
	;; [unrolled: 1-line block ×3, first 2 shown]
	v_pk_mul_f32 v[22:23], v[22:23], v[2:3]
	v_mov_b32_e32 v72, v1
	v_add_f32_e32 v10, v10, v31
	v_pk_fma_f32 v[52:53], v[18:19], v[20:21], v[22:23] neg_lo:[0,0,1] neg_hi:[0,0,1]
	v_mov_b32_e32 v20, v65
	v_mov_b32_e32 v21, v44
	;; [unrolled: 1-line block ×3, first 2 shown]
	v_add_f32_e32 v10, v10, v30
	v_mov_b32_e32 v19, v24
	v_pk_mul_f32 v[0:1], v[20:21], v[0:1]
	s_mov_b32 s25, 0xbf29c268
	v_pk_fma_f32 v[42:43], v[18:19], v[72:73], v[0:1]
	v_add_f32_e32 v0, v10, v49
	v_add_f32_e32 v0, v0, v48
	;; [unrolled: 1-line block ×7, first 2 shown]
	v_pk_add_f32 v[20:21], v[46:47], v[42:43] neg_lo:[0,1] neg_hi:[0,1]
	s_mov_b32 s24, s9
	v_add_f32_e32 v44, v0, v51
	v_pk_add_f32 v[18:19], v[48:49], v[52:53]
	s_mov_b32 s31, s20
	v_pk_mul_f32 v[0:1], v[20:21], s[24:25]
	v_pk_mul_f32 v[22:23], v[20:21], s[34:35] op_sel:[1,0]
	v_pk_fma_f32 v[2:3], v[18:19], s[30:31], v[0:1] neg_lo:[0,0,1] neg_hi:[0,0,1]
	v_pk_fma_f32 v[0:1], v[18:19], s[30:31], v[0:1]
	s_mov_b32 s31, s15
	v_add_f32_e32 v1, v1, v25
	v_pk_fma_f32 v[24:25], v[18:19], s[30:31], v[22:23] op_sel:[1,0,0] neg_lo:[0,0,1] neg_hi:[0,0,1]
	v_mul_f32_e32 v10, 0xbf6f5d39, v21
	v_add_f32_e32 v3, v3, v17
	v_add_f32_e32 v17, v25, v41
	v_fma_f32 v25, v19, s14, -v10
	v_fmac_f32_e32 v10, 0xbeb58ec6, v19
	s_mov_b32 s28, 0x3f52af12
	v_add_f32_e32 v24, v24, v45
	v_add_f32_e32 v12, v10, v12
	;; [unrolled: 1-line block ×4, first 2 shown]
	v_pk_add_f32 v[0:1], v[66:67], v[62:63]
	v_pk_fma_f32 v[2:3], v[18:19], s[30:31], v[22:23] op_sel:[1,0,0]
	s_mov_b32 s29, s8
	v_pk_add_f32 v[0:1], v[2:3], v[0:1]
	v_pk_mul_f32 v[2:3], v[20:21], s[28:29] op_sel_hi:[0,1]
	v_pk_fma_f32 v[22:23], v[18:19], s[0:1], v[2:3] op_sel_hi:[0,1,1] neg_lo:[0,0,1] neg_hi:[0,0,1]
	v_pk_fma_f32 v[2:3], v[18:19], s[0:1], v[2:3] op_sel_hi:[0,1,1]
	s_mov_b32 s24, s19
	v_pk_add_f32 v[0:1], v[2:3], v[0:1]
	v_pk_mul_f32 v[2:3], v[60:61], s[24:25] op_sel:[1,0]
	v_add_f32_e32 v17, v23, v17
	v_add_f32_e32 v62, v22, v24
	v_pk_fma_f32 v[22:23], v[54:55], s[26:27], v[2:3] op_sel:[1,0,0] neg_lo:[0,0,1] neg_hi:[0,0,1]
	v_pk_fma_f32 v[2:3], v[54:55], s[26:27], v[2:3] op_sel:[1,0,0]
	s_mov_b32 s26, s9
	s_mov_b32 s27, s35
	v_add_f32_e32 v41, v25, v68
	v_add_f32_e32 v63, v40, v22
	;; [unrolled: 1-line block ×3, first 2 shown]
	v_pk_mul_f32 v[22:23], v[60:61], s[26:27] op_sel_hi:[0,1]
	v_pk_add_f32 v[2:3], v[40:41], v[2:3] op_sel_hi:[0,1]
	v_pk_fma_f32 v[24:25], v[54:55], s[30:31], v[22:23] op_sel_hi:[0,1,1] neg_lo:[0,0,1] neg_hi:[0,0,1]
	v_pk_fma_f32 v[22:23], v[54:55], s[30:31], v[22:23] op_sel_hi:[0,1,1]
	s_mov_b32 s26, 0x3f6f5d39
	s_mov_b32 s27, s2
	v_pk_add_f32 v[2:3], v[22:23], v[2:3]
	v_pk_mul_f32 v[22:23], v[58:59], s[26:27] op_sel:[1,0]
	v_add_f32_e32 v40, v24, v63
	v_add_f32_e32 v60, v25, v64
	v_pk_fma_f32 v[24:25], v[56:57], s[22:23], v[22:23] op_sel:[1,0,0] neg_lo:[0,0,1] neg_hi:[0,0,1]
	v_pk_fma_f32 v[22:23], v[56:57], s[22:23], v[22:23] op_sel:[1,0,0]
	s_mov_b32 s9, s34
	v_pk_add_f32 v[2:3], v[22:23], v[2:3]
	v_pk_mul_f32 v[22:23], v[58:59], s[8:9] op_sel_hi:[0,1]
	v_add_f32_e32 v40, v24, v40
	v_add_f32_e32 v54, v25, v60
	v_pk_fma_f32 v[24:25], v[56:57], s[12:13], v[22:23] op_sel_hi:[0,1,1] neg_lo:[0,0,1] neg_hi:[0,0,1]
	v_pk_fma_f32 v[22:23], v[56:57], s[12:13], v[22:23] op_sel_hi:[0,1,1]
	s_mov_b32 s3, s8
	v_pk_add_f32 v[2:3], v[22:23], v[2:3]
	v_pk_mul_f32 v[22:23], v[20:21], s[2:3] op_sel:[1,0]
	v_add_f32_e32 v40, v24, v40
	v_add_f32_e32 v54, v25, v54
	v_pk_fma_f32 v[24:25], v[18:19], s[0:1], v[22:23] op_sel:[1,0,0] neg_lo:[0,0,1] neg_hi:[0,0,1]
	v_pk_fma_f32 v[22:23], v[18:19], s[0:1], v[22:23] op_sel:[1,0,0]
	s_mov_b32 s0, s25
	s_mov_b32 s1, s18
	v_pk_add_f32 v[2:3], v[22:23], v[2:3]
	v_pk_mul_f32 v[22:23], v[20:21], s[0:1] op_sel_hi:[0,1]
	v_add_f32_e32 v40, v24, v40
	v_add_f32_e32 v54, v25, v54
	v_pk_fma_f32 v[24:25], v[18:19], s[20:21], v[22:23] op_sel_hi:[0,1,1] neg_lo:[0,0,1] neg_hi:[0,0,1]
	v_pk_fma_f32 v[22:23], v[18:19], s[20:21], v[22:23] op_sel_hi:[0,1,1]
	v_mul_f32_e32 v19, 0x3f7e222b, v20
	v_fma_f32 v20, v18, s15, -v19
	v_fmac_f32_e32 v19, 0x3df6dbef, v18
	v_add_f32_e32 v12, v19, v12
	v_mov_b32_e32 v19, 2
	v_mul_u32_u24_e32 v18, 0x374, v88
	v_lshlrev_b32_sdwa v19, v19, v89 dst_sel:DWORD dst_unused:UNUSED_PAD src0_sel:DWORD src1_sel:BYTE_0
	v_add_f32_e32 v21, v24, v40
	v_add3_u32 v40, 0, v18, v19
	v_add_f32_e32 v24, v25, v54
	v_pk_add_f32 v[2:3], v[22:23], v[2:3]
	v_add_f32_e32 v20, v20, v41
	ds_write2_b32 v40, v44, v45 offset1:17
	ds_write2_b32 v40, v17, v21 offset0:34 offset1:51
	ds_write2_b32 v40, v62, v24 offset0:68 offset1:85
	;; [unrolled: 1-line block ×5, first 2 shown]
	ds_write_b32 v40, v10 offset:816
	v_add_u32_e32 v12, 0x680, v131
	s_waitcnt lgkmcnt(0)
	s_barrier
	ds_read2_b32 v[20:21], v12 offset0:26 offset1:247
	v_add_u32_e32 v12, 0xd80, v131
	ds_read2_b32 v[24:25], v12 offset0:20 offset1:241
	v_add_u32_e32 v12, 0x1480, v131
	ds_read2_b32 v[18:19], v131 offset1:221
	ds_read2_b32 v[22:23], v12 offset0:14 offset1:235
	s_movk_i32 s0, 0x55
	s_movk_i32 s2, 0x54
	v_cmp_gt_u32_e64 s[0:1], s0, v130
	v_cmp_lt_u32_e64 s[2:3], s2, v130
	s_and_saveexec_b64 s[8:9], s[2:3]
	s_xor_b64 s[8:9], exec, s[8:9]
	s_andn2_saveexec_b64 s[8:9], s[8:9]
	s_cbranch_execz .LBB0_17
; %bb.16:
	v_add_u32_e32 v0, 0x200, v131
	ds_read2_b32 v[44:45], v0 offset0:8 offset1:229
	v_add_u32_e32 v0, 0xf80, v131
	ds_read2_b32 v[54:55], v0 offset0:28 offset1:249
	;; [unrolled: 2-line block ×4, first 2 shown]
	s_waitcnt lgkmcnt(2)
	v_mov_b32_e32 v10, v54
	v_mov_b32_e32 v0, v45
	s_waitcnt lgkmcnt(1)
	v_mov_b32_e32 v11, v8
	v_mov_b32_e32 v8, v55
	;; [unrolled: 3-line block ×3, first 2 shown]
.LBB0_17:
	s_or_b64 exec, exec, s[8:9]
	v_add_f32_e32 v12, v16, v39
	v_pk_add_f32 v[34:35], v[34:35], v[50:51] neg_lo:[0,1] neg_hi:[0,1]
	v_add_f32_e32 v12, v12, v38
	v_pk_add_f32 v[38:39], v[38:39], v[26:27]
	v_mul_f32_e32 v17, 0xbeedf032, v35
	s_mov_b32 s8, 0x3f62ad3f
	s_mov_b32 s20, 0xbeb58ec6
	;; [unrolled: 1-line block ×3, first 2 shown]
	v_fmamk_f32 v41, v39, 0x3f62ad3f, v17
	v_fma_f32 v17, v39, s8, -v17
	v_mul_f32_e32 v50, 0xbf52af12, v34
	s_mov_b32 s21, 0x3f116cb1
	v_add_f32_e32 v17, v16, v17
	v_mul_f32_e32 v44, 0xbe750f2a, v35
	v_fmamk_f32 v51, v38, 0x3f116cb1, v50
	v_fma_f32 v50, v38, s21, -v50
	v_add_f32_e32 v12, v12, v33
	v_pk_add_f32 v[30:31], v[30:31], v[36:37] neg_lo:[0,1] neg_hi:[0,1]
	v_add_f32_e32 v41, v16, v41
	v_fmamk_f32 v45, v39, 0xbf788fa5, v44
	s_mov_b32 s12, 0xbf6f5d39
	v_add_f32_e32 v17, v50, v17
	v_mul_f32_e32 v50, 0x3eedf032, v34
	v_add_f32_e32 v12, v12, v32
	v_pk_add_f32 v[32:33], v[32:33], v[28:29]
	v_mul_f32_e32 v36, 0xbf7e222b, v31
	s_mov_b32 s18, 0x3df6dbef
	v_add_f32_e32 v45, v16, v45
	v_fma_f32 v44, v39, s9, -v44
	s_mov_b32 s13, 0xbf52af12
	v_add_f32_e32 v41, v51, v41
	v_fmamk_f32 v51, v38, 0x3f62ad3f, v50
	v_fmamk_f32 v37, v33, 0x3df6dbef, v36
	v_fma_f32 v36, v33, s18, -v36
	v_add_f32_e32 v44, v16, v44
	v_add_f32_e32 v54, v51, v45
	v_fma_f32 v45, v38, s8, -v50
	v_add_f32_e32 v41, v37, v41
	v_add_f32_e32 v17, v36, v17
	v_pk_mul_f32 v[36:37], v[34:35], s[12:13] op_sel:[1,0]
	v_add_f32_e32 v55, v45, v44
	v_pk_fma_f32 v[44:45], v[38:39], s[20:21], v[36:37] op_sel:[1,0,0]
	s_mov_b32 s28, 0x3f29c268
	s_mov_b32 s29, s12
	v_add_f32_e32 v56, v16, v45
	v_add_f32_e32 v57, v16, v44
	v_pk_fma_f32 v[36:37], v[38:39], s[20:21], v[36:37] op_sel:[1,0,0] neg_lo:[0,0,1] neg_hi:[0,0,1]
	s_mov_b32 s22, 0xbf3f9e67
	s_mov_b32 s23, s20
	v_pk_mul_f32 v[44:45], v[34:35], s[28:29] op_sel_hi:[0,1]
	s_mov_b32 s15, 0xbe750f2a
	s_mov_b32 s14, 0x3eedf032
	v_pk_add_f32 v[36:37], v[16:17], v[36:37] op_sel_hi:[0,1]
	v_pk_fma_f32 v[50:51], v[38:39], s[22:23], v[44:45] op_sel_hi:[0,1,1]
	v_pk_fma_f32 v[44:45], v[38:39], s[22:23], v[44:45] op_sel_hi:[0,1,1] neg_lo:[0,0,1] neg_hi:[0,0,1]
	v_pk_add_f32 v[36:37], v[44:45], v[36:37]
	v_pk_mul_f32 v[44:45], v[30:31], s[14:15] op_sel:[1,0]
	v_add_f32_e32 v56, v51, v56
	v_add_f32_e32 v57, v50, v57
	v_pk_fma_f32 v[50:51], v[32:33], s[8:9], v[44:45] op_sel:[1,0,0]
	v_pk_fma_f32 v[44:45], v[32:33], s[8:9], v[44:45] op_sel:[1,0,0] neg_lo:[0,0,1] neg_hi:[0,0,1]
	v_add_f32_e32 v12, v12, v47
	v_pk_add_f32 v[36:37], v[44:45], v[36:37]
	v_mul_f32_e32 v44, 0xbf29c268, v31
	v_fmamk_f32 v45, v33, 0xbf3f9e67, v44
	v_fma_f32 v44, v33, s22, -v44
	v_add_f32_e32 v55, v44, v55
	v_mul_f32_e32 v44, 0xbf6f5d39, v30
	v_add_f32_e32 v12, v12, v46
	s_mov_b32 s24, 0xbf7e222b
	v_add_f32_e32 v54, v45, v54
	v_fmamk_f32 v45, v32, 0xbeb58ec6, v44
	v_fma_f32 v44, v32, s20, -v44
	s_mov_b32 s25, s28
	v_add_f32_e32 v12, v12, v42
	v_add_f32_e32 v41, v45, v41
	;; [unrolled: 1-line block ×3, first 2 shown]
	s_mov_b32 s19, s22
	v_pk_mul_f32 v[44:45], v[30:31], s[24:25] op_sel_hi:[0,1]
	v_add_f32_e32 v12, v12, v43
	v_add_f32_e32 v56, v51, v56
	;; [unrolled: 1-line block ×3, first 2 shown]
	v_pk_fma_f32 v[50:51], v[32:33], s[18:19], v[44:45] op_sel_hi:[0,1,1]
	v_add_f32_e32 v12, v12, v28
	v_add_f32_e32 v51, v51, v56
	v_mul_f32_e32 v56, 0x3f52af12, v30
	v_add_f32_e32 v12, v12, v29
	v_add_f32_e32 v50, v50, v57
	v_fmamk_f32 v57, v32, 0x3f116cb1, v56
	v_fma_f32 v56, v32, s21, -v56
	v_add_f32_e32 v12, v12, v26
	v_pk_add_f32 v[28:29], v[46:47], v[42:43]
	v_pk_add_f32 v[42:43], v[48:49], v[52:53] neg_lo:[0,1] neg_hi:[0,1]
	v_add_f32_e32 v55, v56, v55
	v_add_f32_e32 v56, v12, v27
	v_mul_f32_e32 v12, 0xbf29c268, v43
	v_fmamk_f32 v26, v29, 0xbf3f9e67, v12
	v_pk_fma_f32 v[44:45], v[32:33], s[18:19], v[44:45] op_sel_hi:[0,1,1] neg_lo:[0,0,1] neg_hi:[0,0,1]
	v_add_f32_e32 v41, v26, v41
	s_mov_b32 s30, s9
	s_mov_b32 s31, s18
	v_pk_mul_f32 v[26:27], v[42:43], s[34:35] op_sel:[1,0]
	s_mov_b32 s28, 0x3f52af12
	v_pk_fma_f32 v[46:47], v[28:29], s[30:31], v[26:27] op_sel:[1,0,0]
	v_pk_add_f32 v[36:37], v[44:45], v[36:37]
	v_pk_fma_f32 v[26:27], v[28:29], s[30:31], v[26:27] op_sel:[1,0,0] neg_lo:[0,0,1] neg_hi:[0,0,1]
	s_mov_b32 s29, s14
	s_mov_b32 s26, 0xbf29c268
	v_pk_add_f32 v[26:27], v[26:27], v[36:37]
	s_mov_b32 s36, s21
	s_mov_b32 s37, s8
	v_pk_mul_f32 v[36:37], v[42:43], s[28:29] op_sel_hi:[0,1]
	v_fma_f32 v12, v29, s22, -v12
	v_mul_f32_e32 v49, 0xbe750f2a, v42
	v_pk_fma_f32 v[44:45], v[28:29], s[36:37], v[36:37] op_sel_hi:[0,1,1]
	v_pk_fma_f32 v[36:37], v[28:29], s[36:37], v[36:37] op_sel_hi:[0,1,1] neg_lo:[0,0,1] neg_hi:[0,0,1]
	s_mov_b32 s25, s26
	v_add_f32_e32 v12, v12, v17
	v_add_f32_e32 v17, v47, v51
	;; [unrolled: 1-line block ×3, first 2 shown]
	v_fmamk_f32 v50, v28, 0xbf788fa5, v49
	v_fma_f32 v49, v28, s9, -v49
	v_pk_add_f32 v[26:27], v[36:37], v[26:27]
	v_pk_mul_f32 v[36:37], v[34:35], s[24:25] op_sel:[1,0]
	s_mov_b32 s24, s15
	s_mov_b32 s25, s35
	v_add_f32_e32 v12, v49, v12
	v_add_f32_e32 v49, v45, v17
	v_add_f32_e32 v46, v44, v46
	v_pk_fma_f32 v[44:45], v[38:39], s[18:19], v[36:37] op_sel:[1,0,0]
	v_pk_fma_f32 v[36:37], v[38:39], s[18:19], v[36:37] op_sel:[1,0,0] neg_lo:[0,0,1] neg_hi:[0,0,1]
	v_pk_mul_f32 v[34:35], v[34:35], s[24:25] op_sel_hi:[0,1]
	v_add_f32_e32 v44, v16, v44
	v_add_f32_e32 v45, v16, v45
	v_pk_add_f32 v[16:17], v[16:17], v[36:37] op_sel_hi:[0,1]
	v_pk_fma_f32 v[36:37], v[38:39], s[30:31], v[34:35] op_sel_hi:[0,1,1]
	v_pk_fma_f32 v[34:35], v[38:39], s[30:31], v[34:35] op_sel_hi:[0,1,1] neg_lo:[0,0,1] neg_hi:[0,0,1]
	s_mov_b32 s24, 0x3f6f5d39
	s_mov_b32 s25, s13
	v_pk_add_f32 v[16:17], v[34:35], v[16:17]
	v_pk_mul_f32 v[34:35], v[30:31], s[24:25] op_sel:[1,0]
	s_mov_b32 s15, s34
	v_add_f32_e32 v44, v36, v44
	v_add_f32_e32 v45, v37, v45
	v_pk_fma_f32 v[36:37], v[32:33], s[20:21], v[34:35] op_sel:[1,0,0]
	v_pk_fma_f32 v[34:35], v[32:33], s[20:21], v[34:35] op_sel:[1,0,0] neg_lo:[0,0,1] neg_hi:[0,0,1]
	v_pk_mul_f32 v[30:31], v[30:31], s[14:15] op_sel_hi:[0,1]
	v_pk_add_f32 v[16:17], v[34:35], v[16:17]
	v_pk_fma_f32 v[34:35], v[32:33], s[8:9], v[30:31] op_sel_hi:[0,1,1]
	v_pk_fma_f32 v[30:31], v[32:33], s[8:9], v[30:31] op_sel_hi:[0,1,1] neg_lo:[0,0,1] neg_hi:[0,0,1]
	s_mov_b32 s8, s13
	s_mov_b32 s9, s14
	v_pk_add_f32 v[16:17], v[30:31], v[16:17]
	v_pk_mul_f32 v[30:31], v[42:43], s[8:9] op_sel:[1,0]
	v_add_f32_e32 v36, v36, v44
	v_add_f32_e32 v37, v37, v45
	v_pk_fma_f32 v[32:33], v[28:29], s[36:37], v[30:31] op_sel:[1,0,0]
	v_pk_fma_f32 v[30:31], v[28:29], s[36:37], v[30:31] op_sel:[1,0,0] neg_lo:[0,0,1] neg_hi:[0,0,1]
	s_mov_b32 s27, s12
	v_add_f32_e32 v34, v34, v36
	v_add_f32_e32 v35, v35, v37
	v_pk_add_f32 v[16:17], v[30:31], v[16:17]
	v_pk_mul_f32 v[30:31], v[42:43], s[26:27] op_sel_hi:[0,1]
	v_mul_f32_e32 v47, 0xbf6f5d39, v43
	v_add_f32_e32 v34, v32, v34
	v_add_f32_e32 v35, v33, v35
	v_pk_fma_f32 v[32:33], v[28:29], s[22:23], v[30:31] op_sel_hi:[0,1,1]
	v_pk_fma_f32 v[30:31], v[28:29], s[22:23], v[30:31] op_sel_hi:[0,1,1] neg_lo:[0,0,1] neg_hi:[0,0,1]
	v_add_f32_e32 v54, v57, v54
	v_fmamk_f32 v48, v29, 0xbeb58ec6, v47
	v_fma_f32 v47, v29, s20, -v47
	v_pk_add_f32 v[16:17], v[30:31], v[16:17]
	v_mul_f32_e32 v30, 0x3f7e222b, v42
	v_add_f32_e32 v48, v48, v54
	v_add_f32_e32 v47, v47, v55
	;; [unrolled: 1-line block ×4, first 2 shown]
	v_fmamk_f32 v31, v28, 0x3df6dbef, v30
	v_fma_f32 v28, v28, s18, -v30
	v_add_f32_e32 v29, v33, v35
	v_add_f32_e32 v31, v31, v48
	;; [unrolled: 1-line block ×3, first 2 shown]
	s_waitcnt lgkmcnt(0)
	s_barrier
	ds_write2_b32 v40, v56, v41 offset1:17
	ds_write2_b32 v40, v49, v32 offset0:34 offset1:51
	ds_write2_b32 v40, v46, v29 offset0:68 offset1:85
	;; [unrolled: 1-line block ×5, first 2 shown]
	ds_write_b32 v40, v12 offset:816
	v_add_u32_e32 v32, 0xd80, v131
	s_waitcnt lgkmcnt(0)
	s_barrier
	v_add_u32_e32 v30, 0x680, v131
	ds_read2_b32 v[34:35], v32 offset0:20 offset1:241
	v_add_u32_e32 v32, 0x1480, v131
	ds_read2_b32 v[28:29], v131 offset1:221
	ds_read2_b32 v[30:31], v30 offset0:26 offset1:247
	ds_read2_b32 v[32:33], v32 offset0:14 offset1:235
	s_and_saveexec_b64 s[8:9], s[2:3]
	s_xor_b64 s[2:3], exec, s[8:9]
	s_cbranch_execnz .LBB0_21
; %bb.18:
	s_andn2_saveexec_b64 s[2:3], s[2:3]
	s_cbranch_execnz .LBB0_22
.LBB0_19:
	s_or_b64 exec, exec, s[2:3]
	s_and_saveexec_b64 s[2:3], vcc
	s_cbranch_execnz .LBB0_23
.LBB0_20:
	s_endpgm
.LBB0_21:
                                        ; implicit-def: $vgpr131
	s_andn2_saveexec_b64 s[2:3], s[2:3]
	s_cbranch_execz .LBB0_19
.LBB0_22:
	v_add_u32_e32 v12, 0x200, v131
	ds_read2_b32 v[36:37], v12 offset0:8 offset1:229
	v_add_u32_e32 v12, 0xf80, v131
	ds_read2_b32 v[38:39], v12 offset0:28 offset1:249
	;; [unrolled: 2-line block ×4, first 2 shown]
	s_waitcnt lgkmcnt(2)
	v_mov_b32_e32 v12, v38
	v_mov_b32_e32 v26, v37
	s_waitcnt lgkmcnt(1)
	v_mov_b32_e32 v13, v14
	v_mov_b32_e32 v14, v39
	;; [unrolled: 3-line block ×3, first 2 shown]
	s_or_b64 exec, exec, s[2:3]
	s_and_saveexec_b64 s[2:3], vcc
	s_cbranch_execz .LBB0_20
.LBB0_23:
	v_mul_u32_u24_e32 v36, 7, v130
	v_lshlrev_b32_e32 v44, 3, v36
	global_load_dwordx4 v[36:39], v44, s[4:5] offset:1648
	global_load_dwordx4 v[40:43], v44, s[4:5] offset:1664
	global_load_dwordx2 v[48:49], v44, s[4:5] offset:1680
	v_mul_lo_u32 v57, s7, v6
	global_load_dwordx4 v[44:47], v44, s[4:5] offset:1632
	v_mul_lo_u32 v58, s6, v7
	v_mad_u64_u32 v[6:7], s[2:3], s6, v6, 0
	v_mad_u64_u32 v[52:53], s[2:3], s16, v130, 0
	v_add_u32_e32 v75, 0xdd, v130
	v_add_u32_e32 v77, 0x1ba, v130
	;; [unrolled: 1-line block ×7, first 2 shown]
	v_mov_b32_e32 v55, v22
	v_add3_u32 v7, v7, v58, v57
	v_mov_b32_e32 v22, v53
	v_mad_u64_u32 v[58:59], s[2:3], s16, v75, 0
	v_mad_u64_u32 v[60:61], s[2:3], s16, v77, 0
	v_mad_u64_u32 v[62:63], s[2:3], s16, v79, 0
	v_mad_u64_u32 v[64:65], s[2:3], s16, v81, 0
	v_mad_u64_u32 v[66:67], s[2:3], s16, v84, 0
	v_mad_u64_u32 v[68:69], s[2:3], s16, v85, 0
	v_mad_u64_u32 v[70:71], s[2:3], s16, v86, 0
	v_mov_b32_e32 v54, v24
	s_waitcnt lgkmcnt(3)
	v_mov_b32_e32 v56, v34
	v_mad_u64_u32 v[72:73], s[2:3], s17, v130, v[22:23]
	v_lshl_add_u64 v[6:7], v[6:7], 3, s[10:11]
	v_mov_b32_e32 v22, v59
	v_mov_b32_e32 v24, v61
	;; [unrolled: 1-line block ×8, first 2 shown]
	v_lshl_add_u64 v[4:5], v[4:5], 3, v[6:7]
	v_mad_u64_u32 v[6:7], s[2:3], s17, v75, v[22:23]
	v_mad_u64_u32 v[72:73], s[2:3], s17, v77, v[24:25]
	v_mad_u64_u32 v[82:83], s[2:3], s17, v79, v[34:35]
	v_mad_u64_u32 v[74:75], s[2:3], s17, v81, v[74:75]
	v_mad_u64_u32 v[76:77], s[2:3], s17, v84, v[76:77]
	v_mad_u64_u32 v[78:79], s[2:3], s17, v85, v[78:79]
	v_mad_u64_u32 v[80:81], s[2:3], s17, v86, v[80:81]
	v_mov_b32_e32 v59, v6
	v_mov_b32_e32 v61, v72
	;; [unrolled: 1-line block ×7, first 2 shown]
	v_lshl_add_u64 v[6:7], v[58:59], 3, v[4:5]
	v_lshl_add_u64 v[58:59], v[60:61], 3, v[4:5]
	;; [unrolled: 1-line block ×7, first 2 shown]
	s_waitcnt lgkmcnt(0)
	v_mov_b32_e32 v57, v32
	v_mov_b32_e32 v22, v25
	;; [unrolled: 1-line block ×4, first 2 shown]
	s_waitcnt vmcnt(3)
	v_mov_b32_e32 v70, v38
	s_waitcnt vmcnt(2)
	v_mov_b32_e32 v71, v42
	v_mov_b32_e32 v42, v39
	v_pk_mul_f32 v[38:39], v[56:57], v[42:43]
	v_pk_mul_f32 v[42:43], v[54:55], v[42:43]
	s_waitcnt vmcnt(1)
	v_mov_b32_e32 v25, v48
	v_mov_b32_e32 v48, v41
	v_pk_fma_f32 v[38:39], v[54:55], v[70:71], v[38:39] neg_lo:[0,0,1] neg_hi:[0,0,1]
	v_pk_fma_f32 v[42:43], v[56:57], v[70:71], v[42:43]
	v_mov_b32_e32 v54, v19
	v_mov_b32_e32 v55, v21
	v_mov_b32_e32 v57, v36
	v_mov_b32_e32 v70, v29
	v_mov_b32_e32 v71, v31
	s_waitcnt vmcnt(0)
	v_mov_b32_e32 v36, v45
	v_mov_b32_e32 v24, v40
	v_pk_mul_f32 v[34:35], v[32:33], v[48:49]
	v_pk_mul_f32 v[30:31], v[30:31], v[46:47] op_sel_hi:[0,1]
	v_mov_b32_e32 v56, v44
	v_pk_mul_f32 v[44:45], v[70:71], v[36:37]
	v_pk_fma_f32 v[34:35], v[22:23], v[24:25], v[34:35] neg_lo:[0,0,1] neg_hi:[0,0,1]
	v_pk_mul_f32 v[36:37], v[54:55], v[36:37]
	v_pk_mul_f32 v[22:23], v[22:23], v[48:49]
	v_pk_fma_f32 v[40:41], v[20:21], v[46:47], v[30:31] op_sel:[0,0,1] op_sel_hi:[1,1,0] neg_lo:[0,0,1] neg_hi:[0,0,1]
	v_pk_fma_f32 v[20:21], v[20:21], v[46:47], v[30:31] op_sel:[0,0,1] op_sel_hi:[0,1,0]
	v_pk_fma_f32 v[44:45], v[54:55], v[56:57], v[44:45] neg_lo:[0,0,1] neg_hi:[0,0,1]
	v_pk_fma_f32 v[36:37], v[70:71], v[56:57], v[36:37]
	v_pk_fma_f32 v[22:23], v[32:33], v[24:25], v[22:23]
	v_mov_b32_e32 v19, v40
	v_mov_b32_e32 v29, v21
	v_pk_add_f32 v[34:35], v[44:45], v[34:35] neg_lo:[0,1] neg_hi:[0,1]
	v_pk_add_f32 v[22:23], v[36:37], v[22:23] neg_lo:[0,1] neg_hi:[0,1]
	v_mov_b32_e32 v41, v21
	v_pk_add_f32 v[18:19], v[18:19], v[38:39] neg_lo:[0,1] neg_hi:[0,1]
	v_pk_add_f32 v[20:21], v[28:29], v[42:43] neg_lo:[0,1] neg_hi:[0,1]
	v_mov_b32_e32 v51, v28
	v_pk_add_f32 v[24:25], v[34:35], v[22:23] op_sel:[0,1] op_sel_hi:[1,0] neg_lo:[0,1] neg_hi:[0,1]
	v_pk_add_f32 v[32:33], v[34:35], v[22:23] op_sel:[0,1] op_sel_hi:[1,0]
	v_pk_add_f32 v[28:29], v[18:19], v[20:21] op_sel:[0,1] op_sel_hi:[1,0] neg_lo:[0,1] neg_hi:[0,1]
	v_pk_add_f32 v[30:31], v[18:19], v[20:21] op_sel:[0,1] op_sel_hi:[1,0]
	v_mov_b32_e32 v25, v33
	s_mov_b32 s2, 0x3f3504f3
	v_mov_b32_e32 v29, v31
	v_pk_mul_f32 v[32:33], v[24:25], s[2:3] op_sel_hi:[1,0]
	v_pk_fma_f32 v[30:31], v[24:25], s[2:3], v[28:29] op_sel_hi:[1,0,1]
	v_lshl_add_u64 v[52:53], v[52:53], 3, v[4:5]
	v_pk_add_f32 v[38:39], v[30:31], v[32:33] op_sel:[0,1] op_sel_hi:[1,0] neg_lo:[0,1] neg_hi:[0,1]
	v_pk_add_f32 v[30:31], v[30:31], v[32:33] op_sel:[0,1] op_sel_hi:[1,0]
	s_nop 0
	v_mov_b32_e32 v39, v31
	v_mov_b32_e32 v31, v20
	v_mov_b32_e32 v20, v19
	v_mov_b32_e32 v30, v18
	v_pk_fma_f32 v[18:19], v[40:41], 2.0, v[20:21] op_sel_hi:[1,0,1] neg_lo:[0,0,1] neg_hi:[0,0,1]
	v_mov_b32_e32 v21, v44
	v_mov_b32_e32 v44, v37
	v_mov_b32_e32 v37, v35
	v_mov_b32_e32 v35, v22
	v_pk_fma_f32 v[32:33], v[50:51], 2.0, v[30:31] op_sel_hi:[1,0,1] neg_lo:[0,0,1] neg_hi:[0,0,1]
	;; [unrolled: 5-line block ×3, first 2 shown]
	v_pk_fma_f32 v[30:31], v[30:31], 2.0, v[28:29] op_sel_hi:[1,0,1] neg_lo:[0,0,1] neg_hi:[0,0,1]
	v_pk_fma_f32 v[20:21], v[20:21], 2.0, v[40:41] op_sel_hi:[1,0,1] neg_lo:[0,0,1] neg_hi:[0,0,1]
	;; [unrolled: 1-line block ×3, first 2 shown]
	v_pk_mul_f32 v[24:25], v[22:23], s[2:3] op_sel_hi:[1,0]
	v_pk_fma_f32 v[22:23], v[22:23], s[2:3], v[30:31] op_sel_hi:[1,0,1] neg_lo:[1,0,0] neg_hi:[1,0,0]
	v_pk_add_f32 v[18:19], v[32:33], v[18:19] neg_lo:[0,1] neg_hi:[0,1]
	v_pk_add_f32 v[36:37], v[20:21], v[36:37] neg_lo:[0,1] neg_hi:[0,1]
	v_pk_add_f32 v[34:35], v[22:23], v[24:25] op_sel:[0,1] op_sel_hi:[1,0] neg_lo:[0,1] neg_hi:[0,1]
	v_pk_add_f32 v[22:23], v[22:23], v[24:25] op_sel:[0,1] op_sel_hi:[1,0]
	v_pk_fma_f32 v[20:21], v[20:21], 2.0, v[36:37] op_sel_hi:[1,0,1] neg_lo:[0,0,1] neg_hi:[0,0,1]
	v_mov_b32_e32 v35, v23
	v_pk_fma_f32 v[22:23], v[32:33], 2.0, v[18:19] op_sel_hi:[1,0,1] neg_lo:[0,0,1] neg_hi:[0,0,1]
	v_pk_add_f32 v[40:41], v[18:19], v[36:37] neg_lo:[0,1] neg_hi:[0,1]
	v_pk_add_f32 v[20:21], v[22:23], v[20:21] op_sel:[0,1] op_sel_hi:[1,0] neg_lo:[0,1] neg_hi:[0,1]
	v_pk_add_f32 v[42:43], v[18:19], v[36:37]
	v_pk_fma_f32 v[22:23], v[22:23], 2.0, v[20:21] op_sel_hi:[1,0,1] neg_lo:[0,0,1] neg_hi:[0,0,1]
	v_mov_b32_e32 v41, v43
	global_store_dwordx2 v[52:53], v[22:23], off
	v_pk_fma_f32 v[22:23], v[30:31], 2.0, v[34:35] op_sel_hi:[1,0,1] neg_lo:[0,0,1] neg_hi:[0,0,1]
	global_store_dwordx2 v[6:7], v[22:23], off
	v_pk_fma_f32 v[6:7], v[18:19], 2.0, v[40:41] op_sel_hi:[1,0,1] neg_lo:[0,0,1] neg_hi:[0,0,1]
	;; [unrolled: 2-line block ×3, first 2 shown]
	global_store_dwordx2 v[60:61], v[6:7], off
	global_store_dwordx2 v[62:63], v[20:21], off
	;; [unrolled: 1-line block ×5, first 2 shown]
	s_and_b64 exec, exec, s[0:1]
	s_cbranch_execz .LBB0_20
; %bb.24:
	v_add_u32_e32 v35, 0x88, v130
	v_add_u32_e32 v6, 0xffffffab, v130
	v_cndmask_b32_e64 v6, v6, v35, s[0:1]
	v_mul_i32_i24_e32 v6, 7, v6
	v_mov_b32_e32 v7, 0
	v_lshl_add_u64 v[6:7], v[6:7], 3, s[4:5]
	global_load_dwordx4 v[18:21], v[6:7], off offset:1632
	global_load_dwordx4 v[22:25], v[6:7], off offset:1648
	;; [unrolled: 1-line block ×3, first 2 shown]
	global_load_dwordx2 v[32:33], v[6:7], off offset:1680
	v_mad_u64_u32 v[36:37], s[0:1], s16, v35, 0
	v_mov_b32_e32 v6, v3
	v_mov_b32_e32 v34, v3
	;; [unrolled: 1-line block ×3, first 2 shown]
	v_mad_u64_u32 v[38:39], s[0:1], s17, v35, v[38:39]
	v_mov_b32_e32 v7, v17
	v_mov_b32_e32 v37, v38
	s_waitcnt vmcnt(3)
	v_mov_b32_e32 v40, v18
	s_waitcnt vmcnt(2)
	v_mov_b32_e32 v41, v22
	v_mov_b32_e32 v22, v19
	v_mov_b32_e32 v18, v24
	s_waitcnt vmcnt(1)
	v_mov_b32_e32 v19, v30
	v_mov_b32_e32 v30, v25
	;; [unrolled: 4-line block ×3, first 2 shown]
	v_pk_mul_f32 v[28:29], v[16:17], v[20:21] op_sel_hi:[0,1]
	v_pk_mul_f32 v[42:43], v[26:27], v[22:23]
	v_pk_mul_f32 v[22:23], v[0:1], v[22:23]
	;; [unrolled: 1-line block ×6, first 2 shown]
	v_pk_fma_f32 v[48:49], v[2:3], v[20:21], v[28:29] op_sel:[0,0,1] op_sel_hi:[1,1,0] neg_lo:[0,0,1] neg_hi:[0,0,1]
	v_pk_fma_f32 v[2:3], v[2:3], v[20:21], v[28:29] op_sel:[0,0,1] op_sel_hi:[0,1,0]
	v_pk_fma_f32 v[0:1], v[0:1], v[40:41], v[42:43] neg_lo:[0,0,1] neg_hi:[0,0,1]
	v_pk_fma_f32 v[20:21], v[26:27], v[40:41], v[22:23]
	v_pk_fma_f32 v[10:11], v[10:11], v[18:19], v[44:45] neg_lo:[0,0,1] neg_hi:[0,0,1]
	v_pk_fma_f32 v[12:13], v[12:13], v[18:19], v[30:31]
	;; [unrolled: 2-line block ×3, first 2 shown]
	v_mov_b32_e32 v35, v48
	v_mov_b32_e32 v2, v17
	;; [unrolled: 1-line block ×3, first 2 shown]
	v_pk_add_f32 v[8:9], v[0:1], v[8:9] neg_lo:[0,1] neg_hi:[0,1]
	v_pk_add_f32 v[14:15], v[20:21], v[14:15] neg_lo:[0,1] neg_hi:[0,1]
	;; [unrolled: 1-line block ×4, first 2 shown]
	v_mov_b32_e32 v12, v20
	v_mov_b32_e32 v13, v0
	;; [unrolled: 1-line block ×3, first 2 shown]
	v_pk_add_f32 v[16:17], v[8:9], v[14:15] op_sel:[0,1] op_sel_hi:[1,0] neg_lo:[0,1] neg_hi:[0,1]
	v_pk_add_f32 v[18:19], v[8:9], v[14:15] op_sel:[0,1] op_sel_hi:[1,0]
	v_mov_b32_e32 v20, v10
	v_mov_b32_e32 v21, v2
	;; [unrolled: 1-line block ×4, first 2 shown]
	v_pk_add_f32 v[28:29], v[10:11], v[2:3] op_sel:[0,1] op_sel_hi:[1,0] neg_lo:[0,1] neg_hi:[0,1]
	v_pk_add_f32 v[2:3], v[10:11], v[2:3] op_sel:[0,1] op_sel_hi:[1,0]
	v_mov_b32_e32 v24, v14
	v_mov_b32_e32 v25, v8
	;; [unrolled: 1-line block ×6, first 2 shown]
	v_pk_fma_f32 v[6:7], v[6:7], 2.0, v[20:21] op_sel_hi:[1,0,1] neg_lo:[0,0,1] neg_hi:[0,0,1]
	v_pk_fma_f32 v[10:11], v[48:49], 2.0, v[22:23] op_sel_hi:[1,0,1] neg_lo:[0,0,1] neg_hi:[0,0,1]
	v_mov_b32_e32 v29, v3
	v_pk_fma_f32 v[12:13], v[12:13], 2.0, v[24:25] op_sel_hi:[1,0,1] neg_lo:[0,0,1] neg_hi:[0,0,1]
	v_pk_fma_f32 v[0:1], v[0:1], 2.0, v[26:27] op_sel_hi:[1,0,1] neg_lo:[0,0,1] neg_hi:[0,0,1]
	v_pk_add_f32 v[2:3], v[6:7], v[10:11] neg_lo:[0,1] neg_hi:[0,1]
	v_pk_fma_f32 v[8:9], v[8:9], 2.0, v[16:17] op_sel_hi:[1,0,1] neg_lo:[0,0,1] neg_hi:[0,0,1]
	v_pk_fma_f32 v[10:11], v[20:21], 2.0, v[28:29] op_sel_hi:[1,0,1] neg_lo:[0,0,1] neg_hi:[0,0,1]
	v_pk_add_f32 v[0:1], v[12:13], v[0:1] neg_lo:[0,1] neg_hi:[0,1]
	v_pk_mul_f32 v[14:15], v[16:17], s[2:3] op_sel_hi:[1,0]
	v_pk_fma_f32 v[16:17], v[16:17], s[2:3], v[28:29] op_sel_hi:[1,0,1]
	v_pk_mul_f32 v[18:19], v[8:9], s[2:3] op_sel_hi:[1,0]
	v_pk_fma_f32 v[8:9], v[8:9], s[2:3], v[10:11] op_sel_hi:[1,0,1] neg_lo:[1,0,0] neg_hi:[1,0,0]
	v_pk_fma_f32 v[6:7], v[6:7], 2.0, v[2:3] op_sel_hi:[1,0,1] neg_lo:[0,0,1] neg_hi:[0,0,1]
	v_pk_fma_f32 v[12:13], v[12:13], 2.0, v[0:1] op_sel_hi:[1,0,1] neg_lo:[0,0,1] neg_hi:[0,0,1]
	v_pk_add_f32 v[22:23], v[16:17], v[14:15] op_sel:[0,1] op_sel_hi:[1,0] neg_lo:[0,1] neg_hi:[0,1]
	v_pk_add_f32 v[14:15], v[16:17], v[14:15] op_sel:[0,1] op_sel_hi:[1,0]
	v_pk_add_f32 v[16:17], v[8:9], v[18:19] op_sel:[0,1] op_sel_hi:[1,0] neg_lo:[0,1] neg_hi:[0,1]
	v_pk_add_f32 v[8:9], v[8:9], v[18:19] op_sel:[0,1] op_sel_hi:[1,0]
	v_pk_add_f32 v[20:21], v[2:3], v[0:1] neg_lo:[0,1] neg_hi:[0,1]
	v_pk_add_f32 v[0:1], v[2:3], v[0:1]
	v_pk_add_f32 v[12:13], v[6:7], v[12:13] op_sel:[0,1] op_sel_hi:[1,0] neg_lo:[0,1] neg_hi:[0,1]
	v_mov_b32_e32 v17, v9
	v_mov_b32_e32 v21, v1
	v_pk_fma_f32 v[0:1], v[6:7], 2.0, v[12:13] op_sel_hi:[1,0,1] neg_lo:[0,0,1] neg_hi:[0,0,1]
	v_pk_fma_f32 v[8:9], v[10:11], 2.0, v[16:17] op_sel_hi:[1,0,1] neg_lo:[0,0,1] neg_hi:[0,0,1]
	v_lshl_add_u64 v[10:11], v[36:37], 3, v[4:5]
	global_store_dwordx2 v[10:11], v[0:1], off
	v_add_u32_e32 v11, 0x165, v130
	v_mad_u64_u32 v[0:1], s[0:1], s16, v11, 0
	v_mov_b32_e32 v10, v1
	v_mad_u64_u32 v[10:11], s[0:1], s17, v11, v[10:11]
	v_mov_b32_e32 v1, v10
	v_lshl_add_u64 v[0:1], v[0:1], 3, v[4:5]
	global_store_dwordx2 v[0:1], v[8:9], off
	v_add_u32_e32 v9, 0x242, v130
	v_mad_u64_u32 v[0:1], s[0:1], s16, v9, 0
	v_mov_b32_e32 v8, v1
	v_mad_u64_u32 v[8:9], s[0:1], s17, v9, v[8:9]
	v_mov_b32_e32 v1, v8
	v_pk_fma_f32 v[2:3], v[2:3], 2.0, v[20:21] op_sel_hi:[1,0,1] neg_lo:[0,0,1] neg_hi:[0,0,1]
	v_lshl_add_u64 v[0:1], v[0:1], 3, v[4:5]
	global_store_dwordx2 v[0:1], v[2:3], off
	v_add_u32_e32 v3, 0x31f, v130
	v_mad_u64_u32 v[0:1], s[0:1], s16, v3, 0
	v_mov_b32_e32 v2, v1
	v_mad_u64_u32 v[2:3], s[0:1], s17, v3, v[2:3]
	v_mov_b32_e32 v23, v15
	v_mov_b32_e32 v1, v2
	v_pk_fma_f32 v[6:7], v[28:29], 2.0, v[22:23] op_sel_hi:[1,0,1] neg_lo:[0,0,1] neg_hi:[0,0,1]
	v_lshl_add_u64 v[0:1], v[0:1], 3, v[4:5]
	v_add_u32_e32 v3, 0x3fc, v130
	global_store_dwordx2 v[0:1], v[6:7], off
	v_mad_u64_u32 v[0:1], s[0:1], s16, v3, 0
	v_mov_b32_e32 v2, v1
	v_mad_u64_u32 v[2:3], s[0:1], s17, v3, v[2:3]
	v_mov_b32_e32 v1, v2
	v_lshl_add_u64 v[0:1], v[0:1], 3, v[4:5]
	v_add_u32_e32 v3, 0x4d9, v130
	global_store_dwordx2 v[0:1], v[12:13], off
	v_mad_u64_u32 v[0:1], s[0:1], s16, v3, 0
	v_mov_b32_e32 v2, v1
	v_mad_u64_u32 v[2:3], s[0:1], s17, v3, v[2:3]
	v_mov_b32_e32 v1, v2
	;; [unrolled: 7-line block ×4, first 2 shown]
	v_lshl_add_u64 v[0:1], v[0:1], 3, v[4:5]
	global_store_dwordx2 v[0:1], v[22:23], off
	s_endpgm
	.section	.rodata,"a",@progbits
	.p2align	6, 0x0
	.amdhsa_kernel fft_rtc_fwd_len1768_factors_17_13_8_wgs_136_tpt_136_halfLds_sp_op_CI_CI_sbrr_dirReg
		.amdhsa_group_segment_fixed_size 0
		.amdhsa_private_segment_fixed_size 0
		.amdhsa_kernarg_size 104
		.amdhsa_user_sgpr_count 2
		.amdhsa_user_sgpr_dispatch_ptr 0
		.amdhsa_user_sgpr_queue_ptr 0
		.amdhsa_user_sgpr_kernarg_segment_ptr 1
		.amdhsa_user_sgpr_dispatch_id 0
		.amdhsa_user_sgpr_kernarg_preload_length 0
		.amdhsa_user_sgpr_kernarg_preload_offset 0
		.amdhsa_user_sgpr_private_segment_size 0
		.amdhsa_uses_dynamic_stack 0
		.amdhsa_enable_private_segment 0
		.amdhsa_system_sgpr_workgroup_id_x 1
		.amdhsa_system_sgpr_workgroup_id_y 0
		.amdhsa_system_sgpr_workgroup_id_z 0
		.amdhsa_system_sgpr_workgroup_info 0
		.amdhsa_system_vgpr_workitem_id 0
		.amdhsa_next_free_vgpr 168
		.amdhsa_next_free_sgpr 58
		.amdhsa_accum_offset 168
		.amdhsa_reserve_vcc 1
		.amdhsa_float_round_mode_32 0
		.amdhsa_float_round_mode_16_64 0
		.amdhsa_float_denorm_mode_32 3
		.amdhsa_float_denorm_mode_16_64 3
		.amdhsa_dx10_clamp 1
		.amdhsa_ieee_mode 1
		.amdhsa_fp16_overflow 0
		.amdhsa_tg_split 0
		.amdhsa_exception_fp_ieee_invalid_op 0
		.amdhsa_exception_fp_denorm_src 0
		.amdhsa_exception_fp_ieee_div_zero 0
		.amdhsa_exception_fp_ieee_overflow 0
		.amdhsa_exception_fp_ieee_underflow 0
		.amdhsa_exception_fp_ieee_inexact 0
		.amdhsa_exception_int_div_zero 0
	.end_amdhsa_kernel
	.text
.Lfunc_end0:
	.size	fft_rtc_fwd_len1768_factors_17_13_8_wgs_136_tpt_136_halfLds_sp_op_CI_CI_sbrr_dirReg, .Lfunc_end0-fft_rtc_fwd_len1768_factors_17_13_8_wgs_136_tpt_136_halfLds_sp_op_CI_CI_sbrr_dirReg
                                        ; -- End function
	.section	.AMDGPU.csdata,"",@progbits
; Kernel info:
; codeLenInByte = 13744
; NumSgprs: 64
; NumVgprs: 168
; NumAgprs: 0
; TotalNumVgprs: 168
; ScratchSize: 0
; MemoryBound: 0
; FloatMode: 240
; IeeeMode: 1
; LDSByteSize: 0 bytes/workgroup (compile time only)
; SGPRBlocks: 7
; VGPRBlocks: 20
; NumSGPRsForWavesPerEU: 64
; NumVGPRsForWavesPerEU: 168
; AccumOffset: 168
; Occupancy: 3
; WaveLimiterHint : 1
; COMPUTE_PGM_RSRC2:SCRATCH_EN: 0
; COMPUTE_PGM_RSRC2:USER_SGPR: 2
; COMPUTE_PGM_RSRC2:TRAP_HANDLER: 0
; COMPUTE_PGM_RSRC2:TGID_X_EN: 1
; COMPUTE_PGM_RSRC2:TGID_Y_EN: 0
; COMPUTE_PGM_RSRC2:TGID_Z_EN: 0
; COMPUTE_PGM_RSRC2:TIDIG_COMP_CNT: 0
; COMPUTE_PGM_RSRC3_GFX90A:ACCUM_OFFSET: 41
; COMPUTE_PGM_RSRC3_GFX90A:TG_SPLIT: 0
	.text
	.p2alignl 6, 3212836864
	.fill 256, 4, 3212836864
	.type	__hip_cuid_d88e426df3ab5016,@object ; @__hip_cuid_d88e426df3ab5016
	.section	.bss,"aw",@nobits
	.globl	__hip_cuid_d88e426df3ab5016
__hip_cuid_d88e426df3ab5016:
	.byte	0                               ; 0x0
	.size	__hip_cuid_d88e426df3ab5016, 1

	.ident	"AMD clang version 19.0.0git (https://github.com/RadeonOpenCompute/llvm-project roc-6.4.0 25133 c7fe45cf4b819c5991fe208aaa96edf142730f1d)"
	.section	".note.GNU-stack","",@progbits
	.addrsig
	.addrsig_sym __hip_cuid_d88e426df3ab5016
	.amdgpu_metadata
---
amdhsa.kernels:
  - .agpr_count:     0
    .args:
      - .actual_access:  read_only
        .address_space:  global
        .offset:         0
        .size:           8
        .value_kind:     global_buffer
      - .offset:         8
        .size:           8
        .value_kind:     by_value
      - .actual_access:  read_only
        .address_space:  global
        .offset:         16
        .size:           8
        .value_kind:     global_buffer
      - .actual_access:  read_only
        .address_space:  global
        .offset:         24
        .size:           8
        .value_kind:     global_buffer
      - .actual_access:  read_only
        .address_space:  global
        .offset:         32
        .size:           8
        .value_kind:     global_buffer
      - .offset:         40
        .size:           8
        .value_kind:     by_value
      - .actual_access:  read_only
        .address_space:  global
        .offset:         48
        .size:           8
        .value_kind:     global_buffer
      - .actual_access:  read_only
        .address_space:  global
        .offset:         56
        .size:           8
        .value_kind:     global_buffer
      - .offset:         64
        .size:           4
        .value_kind:     by_value
      - .actual_access:  read_only
        .address_space:  global
        .offset:         72
        .size:           8
        .value_kind:     global_buffer
      - .actual_access:  read_only
        .address_space:  global
        .offset:         80
        .size:           8
        .value_kind:     global_buffer
      - .actual_access:  read_only
        .address_space:  global
        .offset:         88
        .size:           8
        .value_kind:     global_buffer
      - .actual_access:  write_only
        .address_space:  global
        .offset:         96
        .size:           8
        .value_kind:     global_buffer
    .group_segment_fixed_size: 0
    .kernarg_segment_align: 8
    .kernarg_segment_size: 104
    .language:       OpenCL C
    .language_version:
      - 2
      - 0
    .max_flat_workgroup_size: 136
    .name:           fft_rtc_fwd_len1768_factors_17_13_8_wgs_136_tpt_136_halfLds_sp_op_CI_CI_sbrr_dirReg
    .private_segment_fixed_size: 0
    .sgpr_count:     64
    .sgpr_spill_count: 0
    .symbol:         fft_rtc_fwd_len1768_factors_17_13_8_wgs_136_tpt_136_halfLds_sp_op_CI_CI_sbrr_dirReg.kd
    .uniform_work_group_size: 1
    .uses_dynamic_stack: false
    .vgpr_count:     168
    .vgpr_spill_count: 0
    .wavefront_size: 64
amdhsa.target:   amdgcn-amd-amdhsa--gfx950
amdhsa.version:
  - 1
  - 2
...

	.end_amdgpu_metadata
